;; amdgpu-corpus repo=ROCm/rocFFT kind=compiled arch=gfx906 opt=O3
	.text
	.amdgcn_target "amdgcn-amd-amdhsa--gfx906"
	.amdhsa_code_object_version 6
	.protected	fft_rtc_fwd_len510_factors_17_2_3_5_wgs_238_tpt_34_halfLds_sp_op_CI_CI_sbrr_dirReg ; -- Begin function fft_rtc_fwd_len510_factors_17_2_3_5_wgs_238_tpt_34_halfLds_sp_op_CI_CI_sbrr_dirReg
	.globl	fft_rtc_fwd_len510_factors_17_2_3_5_wgs_238_tpt_34_halfLds_sp_op_CI_CI_sbrr_dirReg
	.p2align	8
	.type	fft_rtc_fwd_len510_factors_17_2_3_5_wgs_238_tpt_34_halfLds_sp_op_CI_CI_sbrr_dirReg,@function
fft_rtc_fwd_len510_factors_17_2_3_5_wgs_238_tpt_34_halfLds_sp_op_CI_CI_sbrr_dirReg: ; @fft_rtc_fwd_len510_factors_17_2_3_5_wgs_238_tpt_34_halfLds_sp_op_CI_CI_sbrr_dirReg
; %bb.0:
	s_load_dwordx4 s[16:19], s[4:5], 0x18
	s_load_dwordx4 s[12:15], s[4:5], 0x0
	;; [unrolled: 1-line block ×3, first 2 shown]
	v_mul_u32_u24_e32 v1, 0x788, v0
	v_lshrrev_b32_e32 v1, 16, v1
	v_mad_u64_u32 v[5:6], s[0:1], s6, 7, v[1:2]
	s_waitcnt lgkmcnt(0)
	s_load_dwordx2 s[22:23], s[16:17], 0x0
	s_load_dwordx2 s[20:21], s[18:19], 0x0
	v_mov_b32_e32 v7, 0
	v_cmp_lt_u64_e64 s[0:1], s[14:15], 2
	v_mov_b32_e32 v42, 0
	v_mov_b32_e32 v6, v7
	;; [unrolled: 1-line block ×5, first 2 shown]
	s_and_b64 vcc, exec, s[0:1]
	v_mov_b32_e32 v2, v43
	v_mov_b32_e32 v4, v6
	s_cbranch_vccnz .LBB0_8
; %bb.1:
	s_load_dwordx2 s[0:1], s[4:5], 0x10
	s_add_u32 s2, s18, 8
	s_addc_u32 s3, s19, 0
	s_add_u32 s6, s16, 8
	s_addc_u32 s7, s17, 0
	v_mov_b32_e32 v42, 0
	s_waitcnt lgkmcnt(0)
	s_add_u32 s24, s0, 8
	v_mov_b32_e32 v43, 0
	v_mov_b32_e32 v1, v42
	;; [unrolled: 1-line block ×3, first 2 shown]
	s_addc_u32 s25, s1, 0
	s_mov_b64 s[26:27], 1
	v_mov_b32_e32 v2, v43
	v_mov_b32_e32 v9, v5
.LBB0_2:                                ; =>This Inner Loop Header: Depth=1
	s_load_dwordx2 s[28:29], s[24:25], 0x0
                                        ; implicit-def: $vgpr3_vgpr4
	s_waitcnt lgkmcnt(0)
	v_or_b32_e32 v8, s29, v10
	v_cmp_ne_u64_e32 vcc, 0, v[7:8]
	s_and_saveexec_b64 s[0:1], vcc
	s_xor_b64 s[30:31], exec, s[0:1]
	s_cbranch_execz .LBB0_4
; %bb.3:                                ;   in Loop: Header=BB0_2 Depth=1
	v_cvt_f32_u32_e32 v3, s28
	v_cvt_f32_u32_e32 v4, s29
	s_sub_u32 s0, 0, s28
	s_subb_u32 s1, 0, s29
	v_mac_f32_e32 v3, 0x4f800000, v4
	v_rcp_f32_e32 v3, v3
	v_mul_f32_e32 v3, 0x5f7ffffc, v3
	v_mul_f32_e32 v4, 0x2f800000, v3
	v_trunc_f32_e32 v4, v4
	v_mac_f32_e32 v3, 0xcf800000, v4
	v_cvt_u32_f32_e32 v4, v4
	v_cvt_u32_f32_e32 v3, v3
	v_mul_lo_u32 v6, s0, v4
	v_mul_hi_u32 v8, s0, v3
	v_mul_lo_u32 v12, s1, v3
	v_mul_lo_u32 v11, s0, v3
	v_add_u32_e32 v6, v8, v6
	v_add_u32_e32 v6, v6, v12
	v_mul_hi_u32 v8, v3, v11
	v_mul_lo_u32 v12, v3, v6
	v_mul_hi_u32 v14, v3, v6
	v_mul_hi_u32 v13, v4, v11
	v_mul_lo_u32 v11, v4, v11
	v_mul_hi_u32 v15, v4, v6
	v_add_co_u32_e32 v8, vcc, v8, v12
	v_addc_co_u32_e32 v12, vcc, 0, v14, vcc
	v_mul_lo_u32 v6, v4, v6
	v_add_co_u32_e32 v8, vcc, v8, v11
	v_addc_co_u32_e32 v8, vcc, v12, v13, vcc
	v_addc_co_u32_e32 v11, vcc, 0, v15, vcc
	v_add_co_u32_e32 v6, vcc, v8, v6
	v_addc_co_u32_e32 v8, vcc, 0, v11, vcc
	v_add_co_u32_e32 v3, vcc, v3, v6
	v_addc_co_u32_e32 v4, vcc, v4, v8, vcc
	v_mul_lo_u32 v6, s0, v4
	v_mul_hi_u32 v8, s0, v3
	v_mul_lo_u32 v11, s1, v3
	v_mul_lo_u32 v12, s0, v3
	v_add_u32_e32 v6, v8, v6
	v_add_u32_e32 v6, v6, v11
	v_mul_lo_u32 v13, v3, v6
	v_mul_hi_u32 v14, v3, v12
	v_mul_hi_u32 v15, v3, v6
	;; [unrolled: 1-line block ×3, first 2 shown]
	v_mul_lo_u32 v12, v4, v12
	v_mul_hi_u32 v8, v4, v6
	v_add_co_u32_e32 v13, vcc, v14, v13
	v_addc_co_u32_e32 v14, vcc, 0, v15, vcc
	v_mul_lo_u32 v6, v4, v6
	v_add_co_u32_e32 v12, vcc, v13, v12
	v_addc_co_u32_e32 v11, vcc, v14, v11, vcc
	v_addc_co_u32_e32 v8, vcc, 0, v8, vcc
	v_add_co_u32_e32 v6, vcc, v11, v6
	v_addc_co_u32_e32 v8, vcc, 0, v8, vcc
	v_add_co_u32_e32 v6, vcc, v3, v6
	v_addc_co_u32_e32 v8, vcc, v4, v8, vcc
	v_mad_u64_u32 v[3:4], s[0:1], v9, v8, 0
	v_mul_hi_u32 v11, v9, v6
	v_add_co_u32_e32 v13, vcc, v11, v3
	v_addc_co_u32_e32 v14, vcc, 0, v4, vcc
	v_mad_u64_u32 v[3:4], s[0:1], v10, v6, 0
	v_mad_u64_u32 v[11:12], s[0:1], v10, v8, 0
	v_add_co_u32_e32 v3, vcc, v13, v3
	v_addc_co_u32_e32 v3, vcc, v14, v4, vcc
	v_addc_co_u32_e32 v4, vcc, 0, v12, vcc
	v_add_co_u32_e32 v6, vcc, v3, v11
	v_addc_co_u32_e32 v8, vcc, 0, v4, vcc
	v_mul_lo_u32 v11, s29, v6
	v_mul_lo_u32 v12, s28, v8
	v_mad_u64_u32 v[3:4], s[0:1], s28, v6, 0
	v_add3_u32 v4, v4, v12, v11
	v_sub_u32_e32 v11, v10, v4
	v_mov_b32_e32 v12, s29
	v_sub_co_u32_e32 v3, vcc, v9, v3
	v_subb_co_u32_e64 v11, s[0:1], v11, v12, vcc
	v_subrev_co_u32_e64 v12, s[0:1], s28, v3
	v_subbrev_co_u32_e64 v11, s[0:1], 0, v11, s[0:1]
	v_cmp_le_u32_e64 s[0:1], s29, v11
	v_cndmask_b32_e64 v13, 0, -1, s[0:1]
	v_cmp_le_u32_e64 s[0:1], s28, v12
	v_cndmask_b32_e64 v12, 0, -1, s[0:1]
	v_cmp_eq_u32_e64 s[0:1], s29, v11
	v_cndmask_b32_e64 v11, v13, v12, s[0:1]
	v_add_co_u32_e64 v12, s[0:1], 2, v6
	v_addc_co_u32_e64 v13, s[0:1], 0, v8, s[0:1]
	v_add_co_u32_e64 v14, s[0:1], 1, v6
	v_addc_co_u32_e64 v15, s[0:1], 0, v8, s[0:1]
	v_subb_co_u32_e32 v4, vcc, v10, v4, vcc
	v_cmp_ne_u32_e64 s[0:1], 0, v11
	v_cmp_le_u32_e32 vcc, s29, v4
	v_cndmask_b32_e64 v11, v15, v13, s[0:1]
	v_cndmask_b32_e64 v13, 0, -1, vcc
	v_cmp_le_u32_e32 vcc, s28, v3
	v_cndmask_b32_e64 v3, 0, -1, vcc
	v_cmp_eq_u32_e32 vcc, s29, v4
	v_cndmask_b32_e32 v3, v13, v3, vcc
	v_cmp_ne_u32_e32 vcc, 0, v3
	v_cndmask_b32_e64 v3, v14, v12, s[0:1]
	v_cndmask_b32_e32 v4, v8, v11, vcc
	v_cndmask_b32_e32 v3, v6, v3, vcc
.LBB0_4:                                ;   in Loop: Header=BB0_2 Depth=1
	s_andn2_saveexec_b64 s[0:1], s[30:31]
	s_cbranch_execz .LBB0_6
; %bb.5:                                ;   in Loop: Header=BB0_2 Depth=1
	v_cvt_f32_u32_e32 v3, s28
	s_sub_i32 s30, 0, s28
	v_rcp_iflag_f32_e32 v3, v3
	v_mul_f32_e32 v3, 0x4f7ffffe, v3
	v_cvt_u32_f32_e32 v3, v3
	v_mul_lo_u32 v4, s30, v3
	v_mul_hi_u32 v4, v3, v4
	v_add_u32_e32 v3, v3, v4
	v_mul_hi_u32 v3, v9, v3
	v_mul_lo_u32 v4, v3, s28
	v_add_u32_e32 v6, 1, v3
	v_sub_u32_e32 v4, v9, v4
	v_subrev_u32_e32 v8, s28, v4
	v_cmp_le_u32_e32 vcc, s28, v4
	v_cndmask_b32_e32 v4, v4, v8, vcc
	v_cndmask_b32_e32 v3, v3, v6, vcc
	v_add_u32_e32 v6, 1, v3
	v_cmp_le_u32_e32 vcc, s28, v4
	v_cndmask_b32_e32 v3, v3, v6, vcc
	v_mov_b32_e32 v4, v7
.LBB0_6:                                ;   in Loop: Header=BB0_2 Depth=1
	s_or_b64 exec, exec, s[0:1]
	v_mul_lo_u32 v6, v4, s28
	v_mul_lo_u32 v8, v3, s29
	v_mad_u64_u32 v[11:12], s[0:1], v3, s28, 0
	s_load_dwordx2 s[0:1], s[6:7], 0x0
	s_load_dwordx2 s[28:29], s[2:3], 0x0
	v_add3_u32 v6, v12, v8, v6
	v_sub_co_u32_e32 v8, vcc, v9, v11
	v_subb_co_u32_e32 v6, vcc, v10, v6, vcc
	s_waitcnt lgkmcnt(0)
	v_mul_lo_u32 v9, s0, v6
	v_mul_lo_u32 v10, s1, v8
	v_mad_u64_u32 v[42:43], s[0:1], s0, v8, v[42:43]
	s_add_u32 s26, s26, 1
	s_addc_u32 s27, s27, 0
	s_add_u32 s2, s2, 8
	v_mul_lo_u32 v6, s28, v6
	v_mul_lo_u32 v11, s29, v8
	v_mad_u64_u32 v[1:2], s[0:1], s28, v8, v[1:2]
	v_add3_u32 v43, v10, v43, v9
	s_addc_u32 s3, s3, 0
	v_mov_b32_e32 v8, s14
	s_add_u32 s6, s6, 8
	v_mov_b32_e32 v9, s15
	s_addc_u32 s7, s7, 0
	v_cmp_ge_u64_e32 vcc, s[26:27], v[8:9]
	s_add_u32 s24, s24, 8
	v_add3_u32 v2, v11, v2, v6
	s_addc_u32 s25, s25, 0
	s_cbranch_vccnz .LBB0_8
; %bb.7:                                ;   in Loop: Header=BB0_2 Depth=1
	v_mov_b32_e32 v10, v4
	v_mov_b32_e32 v9, v3
	s_branch .LBB0_2
.LBB0_8:
	s_load_dwordx2 s[0:1], s[4:5], 0x28
	s_mov_b32 s4, 0x7878788
	v_mul_hi_u32 v6, v0, s4
	s_lshl_b64 s[2:3], s[14:15], 3
	s_add_u32 s4, s18, s2
	s_waitcnt lgkmcnt(0)
	v_cmp_gt_u64_e32 vcc, s[0:1], v[3:4]
	v_mul_u32_u24_e32 v6, 34, v6
	v_sub_u32_e32 v0, v0, v6
	v_cmp_gt_u32_e64 s[0:1], 30, v0
	s_addc_u32 s5, s19, s3
	s_and_b64 s[14:15], vcc, s[0:1]
	v_mov_b32_e32 v9, 0
	v_mov_b32_e32 v8, 0
                                        ; implicit-def: $vgpr11
                                        ; implicit-def: $vgpr13
                                        ; implicit-def: $vgpr15
                                        ; implicit-def: $vgpr17
                                        ; implicit-def: $vgpr19
                                        ; implicit-def: $vgpr21
                                        ; implicit-def: $vgpr23
                                        ; implicit-def: $vgpr25
                                        ; implicit-def: $vgpr27
                                        ; implicit-def: $vgpr29
                                        ; implicit-def: $vgpr31
                                        ; implicit-def: $vgpr41
                                        ; implicit-def: $vgpr39
                                        ; implicit-def: $vgpr33
                                        ; implicit-def: $vgpr35
                                        ; implicit-def: $vgpr37
	s_and_saveexec_b64 s[6:7], s[14:15]
	s_cbranch_execz .LBB0_10
; %bb.9:
	s_add_u32 s2, s16, s2
	s_addc_u32 s3, s17, s3
	s_load_dwordx2 s[2:3], s[2:3], 0x0
	v_mad_u64_u32 v[6:7], s[14:15], s22, v0, 0
	v_add_u32_e32 v14, 30, v0
	s_waitcnt lgkmcnt(0)
	v_mul_lo_u32 v12, s3, v3
	v_mul_lo_u32 v13, s2, v4
	v_mad_u64_u32 v[8:9], s[2:3], s2, v3, 0
	v_mad_u64_u32 v[10:11], s[2:3], s23, v0, v[7:8]
	v_add3_u32 v9, v9, v13, v12
	v_lshlrev_b64 v[8:9], 3, v[8:9]
	v_mov_b32_e32 v7, v10
	v_mov_b32_e32 v10, s9
	v_add_co_u32_e64 v12, s[2:3], s8, v8
	v_addc_co_u32_e64 v13, s[2:3], v10, v9, s[2:3]
	v_mad_u64_u32 v[10:11], s[2:3], s22, v14, 0
	v_lshlrev_b64 v[8:9], 3, v[42:43]
	v_lshlrev_b64 v[6:7], 3, v[6:7]
	v_add_co_u32_e64 v16, s[2:3], v12, v8
	v_mov_b32_e32 v8, v11
	v_addc_co_u32_e64 v17, s[2:3], v13, v9, s[2:3]
	v_mad_u64_u32 v[8:9], s[2:3], s23, v14, v[8:9]
	v_add_u32_e32 v14, 60, v0
	v_mad_u64_u32 v[12:13], s[2:3], s22, v14, 0
	v_mov_b32_e32 v11, v8
	v_add_co_u32_e64 v6, s[2:3], v16, v6
	v_lshlrev_b64 v[8:9], 3, v[10:11]
	v_mov_b32_e32 v10, v13
	v_addc_co_u32_e64 v7, s[2:3], v17, v7, s[2:3]
	v_mad_u64_u32 v[10:11], s[2:3], s23, v14, v[10:11]
	v_add_u32_e32 v11, 0x5a, v0
	v_mad_u64_u32 v[14:15], s[2:3], s22, v11, 0
	v_add_co_u32_e64 v38, s[2:3], v16, v8
	v_mov_b32_e32 v13, v10
	v_mov_b32_e32 v10, v15
	v_addc_co_u32_e64 v39, s[2:3], v17, v9, s[2:3]
	v_lshlrev_b64 v[8:9], 3, v[12:13]
	v_mad_u64_u32 v[10:11], s[2:3], s23, v11, v[10:11]
	v_add_u32_e32 v13, 0x78, v0
	v_mad_u64_u32 v[11:12], s[2:3], s22, v13, 0
	v_add_co_u32_e64 v40, s[2:3], v16, v8
	v_mov_b32_e32 v15, v10
	v_mov_b32_e32 v10, v12
	v_addc_co_u32_e64 v41, s[2:3], v17, v9, s[2:3]
	v_lshlrev_b64 v[8:9], 3, v[14:15]
	v_mad_u64_u32 v[12:13], s[2:3], s23, v13, v[10:11]
	v_add_u32_e32 v15, 0x96, v0
	v_mad_u64_u32 v[13:14], s[2:3], s22, v15, 0
	v_add_co_u32_e64 v42, s[2:3], v16, v8
	v_mov_b32_e32 v10, v14
	v_addc_co_u32_e64 v43, s[2:3], v17, v9, s[2:3]
	v_lshlrev_b64 v[8:9], 3, v[11:12]
	v_mad_u64_u32 v[10:11], s[2:3], s23, v15, v[10:11]
	v_add_u32_e32 v15, 0xb4, v0
	v_mad_u64_u32 v[11:12], s[2:3], s22, v15, 0
	v_add_co_u32_e64 v44, s[2:3], v16, v8
	v_mov_b32_e32 v14, v10
	v_mov_b32_e32 v10, v12
	v_addc_co_u32_e64 v45, s[2:3], v17, v9, s[2:3]
	v_lshlrev_b64 v[8:9], 3, v[13:14]
	v_mad_u64_u32 v[12:13], s[2:3], s23, v15, v[10:11]
	v_add_u32_e32 v15, 0xd2, v0
	v_mad_u64_u32 v[13:14], s[2:3], s22, v15, 0
	v_add_co_u32_e64 v46, s[2:3], v16, v8
	;; [unrolled: 15-line block ×6, first 2 shown]
	v_mov_b32_e32 v10, v14
	v_addc_co_u32_e64 v63, s[2:3], v17, v9, s[2:3]
	v_lshlrev_b64 v[8:9], 3, v[11:12]
	v_mad_u64_u32 v[10:11], s[2:3], s23, v15, v[10:11]
	v_or_b32_e32 v15, 0x1e0, v0
	v_mad_u64_u32 v[11:12], s[2:3], s22, v15, 0
	v_add_co_u32_e64 v64, s[2:3], v16, v8
	v_mov_b32_e32 v14, v10
	v_mov_b32_e32 v10, v12
	v_addc_co_u32_e64 v65, s[2:3], v17, v9, s[2:3]
	v_lshlrev_b64 v[8:9], 3, v[13:14]
	v_mad_u64_u32 v[12:13], s[2:3], s23, v15, v[10:11]
	v_add_co_u32_e64 v66, s[2:3], v16, v8
	v_addc_co_u32_e64 v67, s[2:3], v17, v9, s[2:3]
	v_lshlrev_b64 v[8:9], 3, v[11:12]
	v_add_co_u32_e64 v68, s[2:3], v16, v8
	v_addc_co_u32_e64 v69, s[2:3], v17, v9, s[2:3]
	global_load_dwordx2 v[8:9], v[6:7], off
	global_load_dwordx2 v[10:11], v[38:39], off
	;; [unrolled: 1-line block ×15, first 2 shown]
                                        ; kill: killed $vgpr60 killed $vgpr61
                                        ; kill: killed $vgpr50 killed $vgpr51
                                        ; kill: killed $vgpr40 killed $vgpr41
                                        ; kill: killed $vgpr64 killed $vgpr65
                                        ; kill: killed $vgpr54 killed $vgpr55
                                        ; kill: killed $vgpr44 killed $vgpr45
                                        ; kill: killed $vgpr58 killed $vgpr59
                                        ; kill: killed $vgpr48 killed $vgpr49
                                        ; kill: killed $vgpr38 killed $vgpr39
                                        ; kill: killed $vgpr62 killed $vgpr63
                                        ; kill: killed $vgpr52 killed $vgpr53
                                        ; kill: killed $vgpr42 killed $vgpr43
                                        ; kill: killed $vgpr56 killed $vgpr57
                                        ; kill: killed $vgpr46 killed $vgpr47
                                        ; kill: killed $vgpr6 killed $vgpr7
	global_load_dwordx2 v[38:39], v[66:67], off
	global_load_dwordx2 v[40:41], v[68:69], off
.LBB0_10:
	s_or_b64 exec, exec, s[6:7]
	s_mov_b32 s2, 0x24924925
	v_mul_hi_u32 v6, v5, s2
	s_waitcnt vmcnt(0)
	v_add_f32_e32 v42, v10, v40
	v_mul_f32_e32 v50, 0x3f3d2fb0, v42
	v_sub_f32_e32 v44, v11, v41
	v_sub_u32_e32 v7, v5, v6
	v_lshrrev_b32_e32 v7, 1, v7
	v_add_u32_e32 v6, v7, v6
	v_lshrrev_b32_e32 v6, 2, v6
	v_mul_lo_u32 v6, v6, 7
	v_mov_b32_e32 v7, v50
	v_fmac_f32_e32 v7, 0xbf2c7751, v44
	v_sub_f32_e32 v46, v13, v39
	v_sub_u32_e32 v57, v5, v6
	v_add_f32_e32 v5, v12, v38
	v_mul_f32_e32 v55, 0x3dbcf732, v5
	v_mov_b32_e32 v6, v55
	v_add_f32_e32 v7, v8, v7
	v_mul_f32_e32 v63, 0x3ee437d1, v42
	v_fmac_f32_e32 v6, 0xbf7ee86f, v46
	v_add_f32_e32 v6, v7, v6
	v_mov_b32_e32 v7, v63
	v_mul_f32_e32 v65, 0xbf1a4643, v5
	v_fmac_f32_e32 v7, 0xbf65296c, v44
	v_mov_b32_e32 v43, v65
	v_add_f32_e32 v7, v8, v7
	v_fmac_f32_e32 v43, 0xbf4c4adb, v46
	v_add_f32_e32 v7, v7, v43
	v_add_f32_e32 v43, v14, v30
	v_mul_f32_e32 v58, 0xbf1a4643, v43
	v_sub_f32_e32 v49, v15, v31
	v_mov_b32_e32 v45, v58
	v_fmac_f32_e32 v45, 0xbf4c4adb, v49
	v_mul_f32_e32 v67, 0xbf7ba420, v43
	v_add_f32_e32 v6, v45, v6
	v_mov_b32_e32 v45, v67
	v_fmac_f32_e32 v45, 0x3e3c28d5, v49
	v_add_f32_e32 v7, v45, v7
	v_add_f32_e32 v45, v16, v32
	v_mul_f32_e32 v60, 0xbf7ba420, v45
	v_sub_f32_e32 v51, v17, v33
	v_mov_b32_e32 v47, v60
	v_fmac_f32_e32 v47, 0xbe3c28d5, v51
	v_mul_f32_e32 v69, 0xbe8c1d8e, v45
	v_add_f32_e32 v6, v6, v47
	v_mov_b32_e32 v47, v69
	;; [unrolled: 10-line block ×6, first 2 shown]
	v_fmac_f32_e32 v6, 0xbf06c442, v61
	v_mul_u32_u24_e32 v57, 0x1fe, v57
	v_add_f32_e32 v6, v74, v6
	s_mov_b32 s16, 0x3f3d2fb0
	s_mov_b32 s14, 0x3ee437d1
	;; [unrolled: 1-line block ×8, first 2 shown]
	v_lshlrev_b32_e32 v57, 2, v57
	s_and_saveexec_b64 s[2:3], s[0:1]
	s_cbranch_execz .LBB0_12
; %bb.11:
	v_mul_f32_e32 v74, 0xbe3c28d5, v44
	v_mov_b32_e32 v75, v74
	v_mul_f32_e32 v76, 0x3eb8f4ab, v46
	v_fmac_f32_e32 v75, 0xbf7ba420, v42
	v_mov_b32_e32 v77, v76
	v_add_f32_e32 v75, v8, v75
	v_fmac_f32_e32 v77, 0x3f6eb680, v5
	v_add_f32_e32 v75, v75, v77
	v_mul_f32_e32 v77, 0xbf06c442, v49
	v_mov_b32_e32 v78, v77
	v_fmac_f32_e32 v78, 0xbf59a7d5, v43
	v_add_f32_e32 v75, v78, v75
	v_mul_f32_e32 v78, 0x3f2c7751, v51
	v_mov_b32_e32 v79, v78
	v_fmac_f32_e32 v79, 0x3f3d2fb0, v45
	v_add_f32_e32 v75, v75, v79
	v_mul_f32_e32 v79, 0xbf4c4adb, v53
	v_mov_b32_e32 v80, v79
	v_fmac_f32_e32 v80, 0xbf1a4643, v47
	v_add_f32_e32 v75, v80, v75
	v_mul_f32_e32 v80, 0x3f65296c, v56
	v_fma_f32 v74, v42, s6, -v74
	v_mov_b32_e32 v81, v80
	v_add_f32_e32 v74, v8, v74
	v_fma_f32 v76, v5, s17, -v76
	v_fmac_f32_e32 v81, 0x3ee437d1, v48
	v_add_f32_e32 v74, v74, v76
	v_fma_f32 v76, v43, s8, -v77
	v_add_f32_e32 v75, v75, v81
	v_mul_f32_e32 v81, 0xbf763a35, v59
	v_add_f32_e32 v74, v76, v74
	v_fma_f32 v76, v45, s16, -v78
	v_mov_b32_e32 v82, v81
	v_add_f32_e32 v74, v74, v76
	v_fma_f32 v76, v47, s7, -v79
	v_fmac_f32_e32 v82, 0xbe8c1d8e, v52
	v_add_f32_e32 v74, v76, v74
	v_fma_f32 v76, v48, s14, -v80
	v_add_f32_e32 v75, v82, v75
	v_mul_f32_e32 v82, 0x3f7ee86f, v61
	v_add_f32_e32 v74, v74, v76
	v_fma_f32 v76, v52, s15, -v81
	v_add_f32_e32 v74, v76, v74
	v_fma_f32 v76, v54, s9, -v82
	v_add_f32_e32 v74, v74, v76
	v_mul_f32_e32 v76, 0xbf06c442, v44
	v_mov_b32_e32 v77, v76
	v_mul_f32_e32 v78, 0x3f65296c, v46
	v_fmac_f32_e32 v77, 0xbf59a7d5, v42
	v_mov_b32_e32 v79, v78
	v_add_f32_e32 v77, v8, v77
	v_fmac_f32_e32 v79, 0x3ee437d1, v5
	v_add_f32_e32 v77, v77, v79
	v_mul_f32_e32 v79, 0xbf7ee86f, v49
	v_mov_b32_e32 v80, v79
	v_fmac_f32_e32 v80, 0x3dbcf732, v43
	v_add_f32_e32 v77, v80, v77
	v_mul_f32_e32 v80, 0x3f4c4adb, v51
	v_mov_b32_e32 v81, v80
	v_fmac_f32_e32 v81, 0xbf1a4643, v45
	v_add_f32_e32 v77, v77, v81
	v_mul_f32_e32 v81, 0xbeb8f4ab, v53
	v_mov_b32_e32 v83, v82
	v_mov_b32_e32 v82, v81
	v_fmac_f32_e32 v82, 0x3f6eb680, v47
	v_fmac_f32_e32 v83, 0x3dbcf732, v54
	v_add_f32_e32 v77, v82, v77
	v_mul_f32_e32 v82, 0xbe3c28d5, v56
	v_fma_f32 v76, v42, s8, -v76
	v_add_f32_e32 v75, v75, v83
	v_mov_b32_e32 v83, v82
	v_add_f32_e32 v76, v8, v76
	v_fma_f32 v78, v5, s14, -v78
	v_fmac_f32_e32 v83, 0xbf7ba420, v48
	v_add_f32_e32 v76, v76, v78
	v_fma_f32 v78, v43, s9, -v79
	v_add_f32_e32 v77, v77, v83
	v_mul_f32_e32 v83, 0x3f2c7751, v59
	v_add_f32_e32 v76, v78, v76
	v_fma_f32 v78, v45, s7, -v80
	v_mov_b32_e32 v84, v83
	v_add_f32_e32 v76, v76, v78
	v_fma_f32 v78, v47, s17, -v81
	v_fmac_f32_e32 v84, 0x3f3d2fb0, v52
	v_add_f32_e32 v76, v78, v76
	v_fma_f32 v78, v48, s6, -v82
	v_add_f32_e32 v77, v84, v77
	v_mul_f32_e32 v84, 0xbf763a35, v61
	v_add_f32_e32 v76, v76, v78
	v_fma_f32 v78, v52, s16, -v83
	v_add_f32_e32 v76, v78, v76
	v_fma_f32 v78, v54, s15, -v84
	v_add_f32_e32 v76, v76, v78
	v_mul_f32_e32 v78, 0xbf4c4adb, v44
	v_mov_b32_e32 v79, v78
	v_mul_f32_e32 v80, 0x3f763a35, v46
	v_fmac_f32_e32 v79, 0xbf1a4643, v42
	v_mov_b32_e32 v81, v80
	v_add_f32_e32 v79, v8, v79
	v_fmac_f32_e32 v81, 0xbe8c1d8e, v5
	v_add_f32_e32 v79, v79, v81
	v_mul_f32_e32 v81, 0xbeb8f4ab, v49
	v_mov_b32_e32 v82, v81
	v_fmac_f32_e32 v82, 0x3f6eb680, v43
	v_add_f32_e32 v79, v82, v79
	v_mul_f32_e32 v82, 0xbf06c442, v51
	v_mov_b32_e32 v83, v82
	v_fmac_f32_e32 v83, 0xbf59a7d5, v45
	v_add_f32_e32 v79, v79, v83
	v_mul_f32_e32 v83, 0x3f7ee86f, v53
	v_mov_b32_e32 v85, v84
	v_mov_b32_e32 v84, v83
	v_fmac_f32_e32 v84, 0x3dbcf732, v47
	v_fmac_f32_e32 v85, 0xbe8c1d8e, v54
	v_add_f32_e32 v79, v84, v79
	v_mul_f32_e32 v84, 0xbf2c7751, v56
	v_fma_f32 v78, v42, s7, -v78
	v_add_f32_e32 v77, v77, v85
	;; [unrolled: 48-line block ×4, first 2 shown]
	v_mov_b32_e32 v89, v88
	v_add_f32_e32 v82, v8, v82
	v_fma_f32 v84, v5, s6, -v84
	v_fmac_f32_e32 v89, 0xbf59a7d5, v48
	v_add_f32_e32 v82, v82, v84
	v_fma_f32 v84, v43, s15, -v85
	v_add_f32_e32 v83, v83, v89
	v_mul_f32_e32 v89, 0x3f4c4adb, v59
	v_add_f32_e32 v82, v84, v82
	v_fma_f32 v84, v45, s17, -v86
	v_mov_b32_e32 v90, v89
	v_add_f32_e32 v82, v82, v84
	v_fma_f32 v84, v47, s14, -v87
	v_fmac_f32_e32 v90, 0xbf1a4643, v52
	v_add_f32_e32 v82, v84, v82
	v_fma_f32 v84, v48, s8, -v88
	v_add_f32_e32 v83, v90, v83
	v_mul_f32_e32 v90, 0x3f2c7751, v61
	v_add_f32_e32 v82, v82, v84
	v_fma_f32 v84, v52, s7, -v89
	v_add_f32_e32 v82, v84, v82
	v_fma_f32 v84, v54, s16, -v90
	v_add_f32_e32 v82, v82, v84
	v_mul_f32_e32 v84, 0xbf65296c, v44
	v_sub_f32_e32 v63, v63, v84
	v_mul_f32_e32 v84, 0xbf4c4adb, v46
	v_sub_f32_e32 v65, v65, v84
	v_add_f32_e32 v63, v8, v63
	v_add_f32_e32 v63, v63, v65
	v_mul_f32_e32 v65, 0x3e3c28d5, v49
	v_sub_f32_e32 v65, v67, v65
	v_add_f32_e32 v63, v65, v63
	v_mul_f32_e32 v65, 0x3f763a35, v51
	v_sub_f32_e32 v65, v69, v65
	;; [unrolled: 3-line block ×7, first 2 shown]
	v_mul_f32_e32 v65, 0xbf7ee86f, v46
	v_sub_f32_e32 v55, v55, v65
	v_add_f32_e32 v50, v8, v50
	v_add_f32_e32 v50, v50, v55
	v_mul_f32_e32 v55, 0xbf4c4adb, v49
	v_sub_f32_e32 v55, v58, v55
	v_mul_f32_e32 v58, 0xbe3c28d5, v51
	v_add_f32_e32 v50, v55, v50
	v_mul_f32_e32 v55, 0x3f06c442, v53
	v_sub_f32_e32 v58, v60, v58
	v_mul_f32_e32 v60, 0x3f763a35, v56
	v_add_f32_e32 v50, v50, v58
	v_sub_f32_e32 v55, v62, v55
	v_mul_f32_e32 v58, 0x3f65296c, v59
	v_add_f32_e32 v50, v55, v50
	;; [unrolled: 3-line block ×3, first 2 shown]
	v_sub_f32_e32 v55, v66, v58
	v_add_f32_e32 v50, v55, v50
	v_sub_f32_e32 v55, v68, v62
	v_mul_f32_e32 v44, 0xbeb8f4ab, v44
	v_add_f32_e32 v50, v50, v55
	v_mov_b32_e32 v55, v44
	v_mul_f32_e32 v46, 0xbf2c7751, v46
	v_fmac_f32_e32 v55, 0x3f6eb680, v42
	v_mov_b32_e32 v58, v46
	v_fma_f32 v42, v42, s17, -v44
	v_add_f32_e32 v55, v8, v55
	v_fmac_f32_e32 v58, 0x3f3d2fb0, v5
	v_mul_f32_e32 v49, 0xbf65296c, v49
	v_add_f32_e32 v42, v8, v42
	v_add_f32_e32 v8, v8, v10
	;; [unrolled: 1-line block ×3, first 2 shown]
	v_mov_b32_e32 v58, v49
	v_add_f32_e32 v8, v8, v12
	v_fmac_f32_e32 v58, 0x3ee437d1, v43
	v_mul_f32_e32 v51, 0xbf7ee86f, v51
	v_add_f32_e32 v8, v8, v14
	v_add_f32_e32 v55, v58, v55
	v_mov_b32_e32 v58, v51
	v_add_f32_e32 v8, v8, v16
	v_fmac_f32_e32 v58, 0x3dbcf732, v45
	v_mul_f32_e32 v53, 0xbf763a35, v53
	v_add_f32_e32 v8, v8, v18
	v_add_f32_e32 v55, v55, v58
	;; [unrolled: 6-line block ×3, first 2 shown]
	v_mov_b32_e32 v58, v56
	v_fma_f32 v5, v5, s16, -v46
	v_add_f32_e32 v8, v8, v24
	v_fmac_f32_e32 v58, 0xbf1a4643, v48
	v_add_f32_e32 v5, v42, v5
	v_fma_f32 v42, v43, s14, -v49
	v_add_f32_e32 v8, v8, v36
	v_add_f32_e32 v55, v55, v58
	v_mul_f32_e32 v58, 0xbf06c442, v59
	v_add_f32_e32 v5, v42, v5
	v_fma_f32 v42, v45, s9, -v51
	v_add_f32_e32 v8, v26, v8
	v_mov_b32_e32 v59, v58
	v_add_f32_e32 v5, v5, v42
	v_fma_f32 v42, v47, s15, -v53
	v_add_f32_e32 v8, v34, v8
	v_fmac_f32_e32 v59, 0xbf59a7d5, v52
	v_add_f32_e32 v5, v42, v5
	v_fma_f32 v42, v48, s7, -v56
	v_add_f32_e32 v8, v28, v8
	v_add_f32_e32 v55, v59, v55
	v_mul_f32_e32 v59, 0xbe3c28d5, v61
	v_add_f32_e32 v5, v5, v42
	v_fma_f32 v42, v52, s8, -v58
	v_add_f32_e32 v8, v32, v8
	v_add_f32_e32 v5, v42, v5
	v_fma_f32 v42, v54, s6, -v59
	v_add_f32_e32 v8, v30, v8
	v_mov_b32_e32 v91, v90
	v_mov_b32_e32 v60, v59
	v_add_f32_e32 v5, v5, v42
	v_add_f32_e32 v8, v38, v8
	v_mul_u32_u24_e32 v42, 0x44, v0
	v_fmac_f32_e32 v91, 0x3f3d2fb0, v54
	v_fmac_f32_e32 v60, 0xbf7ba420, v54
	v_add_f32_e32 v8, v40, v8
	v_add3_u32 v42, 0, v42, v57
	v_add_f32_e32 v83, v83, v91
	v_add_f32_e32 v55, v55, v60
	ds_write2_b32 v42, v8, v5 offset1:1
	ds_write2_b32 v42, v50, v63 offset0:2 offset1:3
	ds_write2_b32 v42, v82, v80 offset0:4 offset1:5
	;; [unrolled: 1-line block ×7, first 2 shown]
	ds_write_b32 v42, v55 offset:64
.LBB0_12:
	s_or_b64 exec, exec, s[2:3]
	v_lshlrev_b32_e32 v5, 2, v0
	v_add_u32_e32 v8, 0, v5
	v_add_u32_e32 v58, v8, v57
	;; [unrolled: 1-line block ×3, first 2 shown]
	s_waitcnt lgkmcnt(0)
	s_barrier
	ds_read2_b32 v[46:47], v42 offset0:127 offset1:161
	ds_read2_b32 v[50:51], v58 offset0:34 offset1:68
	v_add_u32_e32 v42, 0x400, v58
	v_add3_u32 v56, 0, v57, v5
	ds_read2_b32 v[44:45], v42 offset0:67 offset1:101
	ds_read2_b32 v[54:55], v58 offset0:102 offset1:136
	;; [unrolled: 1-line block ×4, first 2 shown]
	ds_read_b32 v60, v56
	ds_read_b32 v59, v58 offset:1836
	v_cmp_gt_u32_e64 s[2:3], 17, v0
	s_and_saveexec_b64 s[6:7], s[2:3]
	s_cbranch_execz .LBB0_14
; %bb.13:
	v_add_u32_e32 v6, 0x3b8, v58
	ds_read2_b32 v[6:7], v6 offset1:255
.LBB0_14:
	s_or_b64 exec, exec, s[6:7]
	v_sub_f32_e32 v74, v10, v40
	v_add_f32_e32 v73, v11, v41
	s_mov_b32 s14, 0x3f3d2fb0
	v_mul_f32_e32 v77, 0xbf2c7751, v74
	v_sub_f32_e32 v71, v12, v38
	v_fma_f32 v10, v73, s14, -v77
	s_mov_b32 s9, 0x3ee437d1
	v_mul_f32_e32 v78, 0xbf65296c, v74
	v_add_f32_e32 v69, v13, v39
	s_mov_b32 s8, 0x3dbcf732
	v_mul_f32_e32 v75, 0xbf7ee86f, v71
	v_sub_f32_e32 v67, v14, v30
	v_add_f32_e32 v10, v9, v10
	v_fma_f32 v40, v73, s9, -v78
	v_fma_f32 v12, v69, s8, -v75
	s_mov_b32 s15, 0xbf1a4643
	v_mul_f32_e32 v76, 0xbf4c4adb, v71
	v_add_f32_e32 v65, v15, v31
	v_mul_f32_e32 v70, 0xbf4c4adb, v67
	v_add_f32_e32 v40, v9, v40
	v_add_f32_e32 v10, v10, v12
	v_fma_f32 v12, v69, s15, -v76
	v_fma_f32 v14, v65, s15, -v70
	s_mov_b32 s17, 0xbf7ba420
	v_mul_f32_e32 v72, 0x3e3c28d5, v67
	v_sub_f32_e32 v63, v16, v32
	v_add_f32_e32 v12, v40, v12
	v_add_f32_e32 v10, v14, v10
	v_fma_f32 v14, v65, s17, -v72
	v_add_f32_e32 v61, v17, v33
	v_mul_f32_e32 v66, 0xbe3c28d5, v63
	v_add_f32_e32 v12, v14, v12
	v_fma_f32 v14, v61, s17, -v66
	s_mov_b32 s16, 0xbe8c1d8e
	v_mul_f32_e32 v68, 0x3f763a35, v63
	v_sub_f32_e32 v38, v18, v28
	v_add_f32_e32 v10, v10, v14
	v_fma_f32 v14, v61, s16, -v68
	v_add_f32_e32 v32, v19, v29
	s_mov_b32 s19, 0xbf59a7d5
	v_mul_f32_e32 v62, 0x3f06c442, v38
	v_add_f32_e32 v12, v12, v14
	v_fma_f32 v14, v32, s19, -v62
	v_mul_f32_e32 v64, 0x3f2c7751, v38
	v_sub_f32_e32 v30, v20, v34
	v_add_f32_e32 v10, v14, v10
	v_fma_f32 v14, v32, s14, -v64
	v_add_f32_e32 v28, v21, v35
	v_mul_f32_e32 v34, 0x3f763a35, v30
	v_add_f32_e32 v12, v14, v12
	v_fma_f32 v14, v28, s16, -v34
	s_mov_b32 s18, 0x3f6eb680
	v_mul_f32_e32 v40, 0xbeb8f4ab, v30
	v_add_f32_e32 v10, v10, v14
	v_fma_f32 v14, v28, s18, -v40
	v_sub_f32_e32 v20, v22, v26
	v_add_f32_e32 v12, v12, v14
	v_add_f32_e32 v14, v23, v27
	v_mul_f32_e32 v22, 0x3f65296c, v20
	v_fma_f32 v16, v14, s9, -v22
	v_mul_f32_e32 v26, 0xbf7ee86f, v20
	v_add_f32_e32 v18, v16, v10
	v_fma_f32 v10, v14, s8, -v26
	v_add_f32_e32 v48, v10, v12
	v_sub_f32_e32 v12, v24, v36
	v_add_f32_e32 v10, v25, v37
	v_mul_f32_e32 v16, 0x3eb8f4ab, v12
	v_fma_f32 v24, v10, s18, -v16
	v_add_f32_e32 v49, v18, v24
	v_mul_f32_e32 v18, 0xbf06c442, v12
	v_fma_f32 v24, v10, s19, -v18
	v_add_f32_e32 v48, v48, v24
	s_waitcnt lgkmcnt(0)
	s_barrier
	s_and_saveexec_b64 s[6:7], s[0:1]
	s_cbranch_execz .LBB0_16
; %bb.15:
	v_add_f32_e32 v11, v9, v11
	v_add_f32_e32 v11, v11, v13
	;; [unrolled: 1-line block ×12, first 2 shown]
	v_mul_f32_e32 v24, 0x3f3d2fb0, v73
	v_mul_f32_e32 v36, 0x3ee437d1, v73
	v_add_f32_e32 v11, v33, v11
	v_mul_f32_e32 v35, 0xbe3c28d5, v74
	v_add_f32_e32 v11, v31, v11
	;; [unrolled: 2-line block ×3, first 2 shown]
	v_add_f32_e32 v19, v36, v78
	v_mul_f32_e32 v21, 0xbf7ee86f, v74
	v_mul_f32_e32 v24, 0xbf763a35, v74
	v_mul_f32_e32 v27, 0xbf4c4adb, v74
	v_mul_f32_e32 v31, 0xbf06c442, v74
	v_mov_b32_e32 v36, v35
	v_fma_f32 v15, v73, s18, -v13
	v_fmac_f32_e32 v13, 0x3f6eb680, v73
	v_fma_f32 v23, v73, s8, -v21
	v_fmac_f32_e32 v21, 0x3dbcf732, v73
	;; [unrolled: 2-line block ×5, first 2 shown]
	v_fmac_f32_e32 v36, 0xbf7ba420, v73
	v_fma_f32 v35, v73, s17, -v35
	v_add_f32_e32 v13, v9, v13
	v_add_f32_e32 v15, v9, v15
	v_add_f32_e32 v17, v9, v17
	v_add_f32_e32 v19, v9, v19
	v_add_f32_e32 v21, v9, v21
	v_add_f32_e32 v23, v9, v23
	v_add_f32_e32 v24, v9, v24
	v_add_f32_e32 v25, v9, v25
	v_add_f32_e32 v27, v9, v27
	v_add_f32_e32 v29, v9, v29
	v_add_f32_e32 v31, v9, v31
	v_add_f32_e32 v33, v9, v33
	v_add_f32_e32 v36, v9, v36
	v_add_f32_e32 v9, v9, v35
	v_mul_f32_e32 v35, 0xbf2c7751, v71
	v_mul_f32_e32 v79, 0x3dbcf732, v69
	v_fma_f32 v37, v69, s14, -v35
	v_fmac_f32_e32 v35, 0x3f3d2fb0, v69
	v_mul_f32_e32 v80, 0xbf1a4643, v69
	v_add_f32_e32 v13, v13, v35
	v_add_f32_e32 v35, v79, v75
	v_add_f32_e32 v17, v17, v35
	v_add_f32_e32 v35, v80, v76
	v_add_f32_e32 v19, v19, v35
	v_mul_f32_e32 v35, 0xbe3c28d5, v71
	v_add_f32_e32 v15, v15, v37
	v_fma_f32 v37, v69, s17, -v35
	v_fmac_f32_e32 v35, 0xbf7ba420, v69
	v_add_f32_e32 v21, v21, v35
	v_mul_f32_e32 v35, 0x3f06c442, v71
	v_add_f32_e32 v23, v23, v37
	v_fma_f32 v37, v69, s19, -v35
	v_fmac_f32_e32 v35, 0xbf59a7d5, v69
	v_add_f32_e32 v24, v24, v35
	v_mul_f32_e32 v35, 0x3f763a35, v71
	v_add_f32_e32 v25, v25, v37
	v_fma_f32 v37, v69, s16, -v35
	v_fmac_f32_e32 v35, 0xbe8c1d8e, v69
	v_add_f32_e32 v27, v27, v35
	v_mul_f32_e32 v35, 0x3f65296c, v71
	v_add_f32_e32 v29, v29, v37
	v_fma_f32 v37, v69, s9, -v35
	v_fmac_f32_e32 v35, 0x3ee437d1, v69
	v_add_f32_e32 v31, v31, v35
	v_mul_f32_e32 v35, 0x3eb8f4ab, v71
	v_add_f32_e32 v33, v33, v37
	v_mov_b32_e32 v37, v35
	v_fma_f32 v35, v69, s18, -v35
	v_fmac_f32_e32 v37, 0x3f6eb680, v69
	v_add_f32_e32 v9, v9, v35
	v_mul_f32_e32 v35, 0xbf65296c, v67
	v_mul_f32_e32 v81, 0xbf1a4643, v65
	v_add_f32_e32 v36, v36, v37
	v_fma_f32 v37, v65, s9, -v35
	v_fmac_f32_e32 v35, 0x3ee437d1, v65
	v_mul_f32_e32 v82, 0xbf7ba420, v65
	v_add_f32_e32 v13, v35, v13
	v_add_f32_e32 v35, v81, v70
	v_add_f32_e32 v17, v35, v17
	v_add_f32_e32 v35, v82, v72
	v_add_f32_e32 v19, v35, v19
	v_mul_f32_e32 v35, 0x3f763a35, v67
	v_add_f32_e32 v15, v37, v15
	v_fma_f32 v37, v65, s16, -v35
	v_fmac_f32_e32 v35, 0xbe8c1d8e, v65
	v_add_f32_e32 v21, v35, v21
	v_mul_f32_e32 v35, 0x3f2c7751, v67
	v_add_f32_e32 v23, v37, v23
	v_fma_f32 v37, v65, s14, -v35
	v_fmac_f32_e32 v35, 0x3f3d2fb0, v65
	v_add_f32_e32 v24, v35, v24
	v_mul_f32_e32 v35, 0xbeb8f4ab, v67
	v_add_f32_e32 v25, v37, v25
	v_fma_f32 v37, v65, s18, -v35
	v_fmac_f32_e32 v35, 0x3f6eb680, v65
	v_add_f32_e32 v27, v35, v27
	v_mul_f32_e32 v35, 0xbf7ee86f, v67
	v_add_f32_e32 v29, v37, v29
	v_fma_f32 v37, v65, s8, -v35
	v_fmac_f32_e32 v35, 0x3dbcf732, v65
	v_add_f32_e32 v31, v35, v31
	v_mul_f32_e32 v35, 0xbf06c442, v67
	v_add_f32_e32 v33, v37, v33
	v_mov_b32_e32 v37, v35
	v_fma_f32 v35, v65, s19, -v35
	v_fmac_f32_e32 v37, 0xbf59a7d5, v65
	v_add_f32_e32 v9, v35, v9
	v_mul_f32_e32 v35, 0xbf7ee86f, v63
	v_mul_f32_e32 v83, 0xbf7ba420, v61
	v_add_f32_e32 v36, v37, v36
	v_fma_f32 v37, v61, s8, -v35
	v_fmac_f32_e32 v35, 0x3dbcf732, v61
	v_mul_f32_e32 v84, 0xbe8c1d8e, v61
	v_add_f32_e32 v13, v13, v35
	v_add_f32_e32 v35, v83, v66
	v_add_f32_e32 v17, v17, v35
	v_add_f32_e32 v35, v84, v68
	v_add_f32_e32 v19, v19, v35
	v_mul_f32_e32 v35, 0x3eb8f4ab, v63
	v_add_f32_e32 v15, v15, v37
	v_fma_f32 v37, v61, s18, -v35
	v_fmac_f32_e32 v35, 0x3f6eb680, v61
	v_add_f32_e32 v21, v21, v35
	v_mul_f32_e32 v35, 0xbf65296c, v63
	v_add_f32_e32 v23, v23, v37
	v_fma_f32 v37, v61, s9, -v35
	v_fmac_f32_e32 v35, 0x3ee437d1, v61
	v_add_f32_e32 v24, v24, v35
	v_mul_f32_e32 v35, 0xbf06c442, v63
	v_add_f32_e32 v25, v25, v37
	v_fma_f32 v37, v61, s19, -v35
	v_fmac_f32_e32 v35, 0xbf59a7d5, v61
	v_add_f32_e32 v27, v27, v35
	v_mul_f32_e32 v35, 0x3f4c4adb, v63
	v_add_f32_e32 v29, v29, v37
	v_fma_f32 v37, v61, s15, -v35
	v_fmac_f32_e32 v35, 0xbf1a4643, v61
	v_add_f32_e32 v31, v31, v35
	v_mul_f32_e32 v35, 0x3f2c7751, v63
	v_add_f32_e32 v33, v33, v37
	v_mov_b32_e32 v37, v35
	v_fma_f32 v35, v61, s14, -v35
	v_fmac_f32_e32 v37, 0x3f3d2fb0, v61
	v_add_f32_e32 v9, v9, v35
	v_mul_f32_e32 v35, 0xbf763a35, v38
	v_mul_f32_e32 v85, 0xbf59a7d5, v32
	v_add_f32_e32 v36, v36, v37
	v_fma_f32 v37, v32, s16, -v35
	v_fmac_f32_e32 v35, 0xbe8c1d8e, v32
	v_mul_f32_e32 v86, 0x3f3d2fb0, v32
	v_add_f32_e32 v13, v35, v13
	v_add_f32_e32 v35, v85, v62
	v_add_f32_e32 v17, v35, v17
	v_add_f32_e32 v35, v86, v64
	v_add_f32_e32 v19, v35, v19
	v_mul_f32_e32 v35, 0xbf65296c, v38
	v_add_f32_e32 v15, v37, v15
	v_fma_f32 v37, v32, s9, -v35
	v_fmac_f32_e32 v35, 0x3ee437d1, v32
	v_add_f32_e32 v21, v35, v21
	v_mul_f32_e32 v35, 0xbe3c28d5, v38
	v_add_f32_e32 v23, v37, v23
	v_fma_f32 v37, v32, s17, -v35
	v_fmac_f32_e32 v35, 0xbf7ba420, v32
	v_add_f32_e32 v24, v35, v24
	;; [unrolled: 5-line block ×4, first 2 shown]
	v_mul_f32_e32 v35, 0xbf4c4adb, v38
	v_add_f32_e32 v33, v37, v33
	v_mov_b32_e32 v37, v35
	v_fmac_f32_e32 v37, 0xbf1a4643, v32
	v_fma_f32 v32, v32, s15, -v35
	v_add_f32_e32 v9, v32, v9
	v_mul_f32_e32 v32, 0xbf4c4adb, v30
	v_mul_f32_e32 v87, 0xbe8c1d8e, v28
	v_fma_f32 v35, v28, s15, -v32
	v_fmac_f32_e32 v32, 0xbf1a4643, v28
	v_mul_f32_e32 v88, 0x3f6eb680, v28
	v_add_f32_e32 v13, v13, v32
	v_add_f32_e32 v32, v87, v34
	;; [unrolled: 1-line block ×5, first 2 shown]
	v_mul_f32_e32 v32, 0xbf06c442, v30
	v_mul_f32_e32 v89, 0x3ee437d1, v14
	v_fma_f32 v34, v28, s19, -v32
	v_fmac_f32_e32 v32, 0xbf59a7d5, v28
	v_mul_f32_e32 v90, 0x3dbcf732, v14
	v_add_f32_e32 v21, v21, v32
	v_mul_f32_e32 v32, 0x3f7ee86f, v30
	v_add_f32_e32 v22, v89, v22
	v_add_f32_e32 v23, v23, v34
	v_fma_f32 v34, v28, s8, -v32
	v_fmac_f32_e32 v32, 0x3dbcf732, v28
	v_add_f32_e32 v17, v22, v17
	v_add_f32_e32 v22, v90, v26
	;; [unrolled: 1-line block ×3, first 2 shown]
	v_mul_f32_e32 v32, 0xbf2c7751, v30
	v_add_f32_e32 v19, v22, v19
	v_mul_f32_e32 v22, 0x3f4c4adb, v20
	v_add_f32_e32 v25, v25, v34
	v_fma_f32 v34, v28, s14, -v32
	v_fmac_f32_e32 v32, 0x3f3d2fb0, v28
	v_fma_f32 v26, v14, s15, -v22
	v_fmac_f32_e32 v22, 0xbf1a4643, v14
	v_add_f32_e32 v27, v27, v32
	v_mul_f32_e32 v32, 0xbe3c28d5, v30
	v_add_f32_e32 v21, v22, v21
	v_add_f32_e32 v22, v26, v23
	v_mul_f32_e32 v23, 0xbeb8f4ab, v20
	v_add_f32_e32 v29, v29, v34
	v_fma_f32 v34, v28, s17, -v32
	v_fmac_f32_e32 v32, 0xbf7ba420, v28
	v_mul_f32_e32 v30, 0x3f65296c, v30
	v_fma_f32 v26, v14, s18, -v23
	v_fmac_f32_e32 v23, 0x3f6eb680, v14
	v_add_f32_e32 v31, v31, v32
	v_add_f32_e32 v32, v33, v34
	v_mov_b32_e32 v33, v30
	v_add_f32_e32 v23, v23, v24
	v_add_f32_e32 v24, v26, v25
	v_mul_f32_e32 v25, 0xbe3c28d5, v20
	v_fmac_f32_e32 v33, 0x3ee437d1, v28
	v_fma_f32 v28, v28, s9, -v30
	v_fma_f32 v26, v14, s17, -v25
	v_fmac_f32_e32 v25, 0xbf7ba420, v14
	v_add_f32_e32 v9, v9, v28
	v_mul_f32_e32 v28, 0xbf06c442, v20
	v_add_f32_e32 v25, v25, v27
	v_mul_f32_e32 v27, 0x3f2c7751, v20
	v_mul_f32_e32 v20, 0xbf763a35, v20
	v_fma_f32 v30, v14, s19, -v28
	v_fmac_f32_e32 v28, 0xbf59a7d5, v14
	v_add_f32_e32 v26, v26, v29
	v_mov_b32_e32 v29, v20
	v_add_f32_e32 v13, v28, v13
	v_fma_f32 v28, v14, s14, -v27
	v_fmac_f32_e32 v27, 0x3f3d2fb0, v14
	v_fmac_f32_e32 v29, 0xbe8c1d8e, v14
	v_fma_f32 v14, v14, s16, -v20
	v_add_f32_e32 v15, v15, v35
	v_add_f32_e32 v9, v14, v9
	v_mul_f32_e32 v14, 0xbe3c28d5, v12
	v_mul_f32_e32 v91, 0x3f6eb680, v10
	v_add_f32_e32 v15, v30, v15
	v_fma_f32 v20, v10, s17, -v14
	v_fmac_f32_e32 v14, 0xbf7ba420, v10
	v_mul_f32_e32 v92, 0xbf59a7d5, v10
	v_add_f32_e32 v13, v13, v14
	v_add_f32_e32 v14, v15, v20
	;; [unrolled: 1-line block ×5, first 2 shown]
	v_mul_f32_e32 v17, 0x3f2c7751, v12
	v_add_f32_e32 v16, v19, v16
	v_fma_f32 v18, v10, s14, -v17
	v_fmac_f32_e32 v17, 0x3f3d2fb0, v10
	v_mul_f32_e32 v19, 0xbf4c4adb, v12
	v_add_f32_e32 v17, v21, v17
	v_fma_f32 v20, v10, s15, -v19
	v_fmac_f32_e32 v19, 0xbf1a4643, v10
	v_mul_f32_e32 v21, 0x3f65296c, v12
	v_add_f32_e32 v18, v22, v18
	v_add_f32_e32 v19, v23, v19
	v_fma_f32 v22, v10, s9, -v21
	v_fmac_f32_e32 v21, 0x3ee437d1, v10
	v_mul_f32_e32 v23, 0xbf763a35, v12
	v_mul_f32_e32 v12, 0x3f7ee86f, v12
	v_add_f32_e32 v21, v25, v21
	v_mov_b32_e32 v25, v12
	v_add_f32_e32 v36, v37, v36
	v_add_f32_e32 v20, v24, v20
	v_fma_f32 v24, v10, s16, -v23
	v_fmac_f32_e32 v23, 0xbe8c1d8e, v10
	v_fmac_f32_e32 v25, 0x3dbcf732, v10
	v_fma_f32 v10, v10, s8, -v12
	v_add_f32_e32 v11, v39, v11
	v_add_f32_e32 v33, v36, v33
	;; [unrolled: 1-line block ×3, first 2 shown]
	v_lshlrev_b32_e32 v10, 6, v0
	v_add_f32_e32 v11, v41, v11
	v_add_f32_e32 v27, v27, v31
	;; [unrolled: 1-line block ×4, first 2 shown]
	v_add3_u32 v8, v8, v10, v57
	v_add_f32_e32 v22, v26, v22
	v_add_f32_e32 v23, v27, v23
	;; [unrolled: 1-line block ×4, first 2 shown]
	ds_write2_b32 v8, v11, v13 offset1:1
	ds_write2_b32 v8, v15, v16 offset0:2 offset1:3
	ds_write2_b32 v8, v17, v19 offset0:4 offset1:5
	;; [unrolled: 1-line block ×7, first 2 shown]
	ds_write_b32 v8, v14 offset:64
.LBB0_16:
	s_or_b64 exec, exec, s[6:7]
	v_add_u32_e32 v8, 0x200, v58
	s_waitcnt lgkmcnt(0)
	s_barrier
	ds_read2_b32 v[18:19], v8 offset0:127 offset1:161
	ds_read2_b32 v[12:13], v58 offset0:34 offset1:68
	v_add_u32_e32 v8, 0x400, v58
	ds_read2_b32 v[16:17], v8 offset0:67 offset1:101
	ds_read2_b32 v[10:11], v58 offset0:102 offset1:136
	;; [unrolled: 1-line block ×4, first 2 shown]
	ds_read_b32 v41, v56
	ds_read_b32 v61, v58 offset:1836
	s_and_saveexec_b64 s[0:1], s[2:3]
	s_cbranch_execz .LBB0_18
; %bb.17:
	v_add_u32_e32 v20, 0x3b8, v58
	ds_read2_b32 v[48:49], v20 offset1:255
.LBB0_18:
	s_or_b64 exec, exec, s[0:1]
	v_subrev_u32_e32 v20, 17, v0
	v_cndmask_b32_e64 v62, v20, v0, s[2:3]
	v_mov_b32_e32 v63, 0
	v_lshlrev_b64 v[20:21], 3, v[62:63]
	v_mov_b32_e32 v23, s13
	v_add_co_u32_e64 v22, s[0:1], s12, v20
	v_addc_co_u32_e64 v23, s[0:1], v23, v21, s[0:1]
	v_add_u32_e32 v37, 34, v0
	s_movk_i32 s0, 0xf1
	v_mul_lo_u16_sdwa v20, v37, s0 dst_sel:DWORD dst_unused:UNUSED_PAD src0_sel:BYTE_0 src1_sel:DWORD
	v_lshrrev_b16_e32 v63, 12, v20
	v_add_u32_e32 v36, 0x44, v0
	v_mul_lo_u16_e32 v20, 17, v63
	v_sub_u16_e32 v64, v37, v20
	v_mul_lo_u16_sdwa v20, v36, s0 dst_sel:DWORD dst_unused:UNUSED_PAD src0_sel:BYTE_0 src1_sel:DWORD
	v_lshrrev_b16_e32 v65, 12, v20
	v_add_u32_e32 v39, 0x66, v0
	v_mul_lo_u16_e32 v20, 17, v65
	v_sub_u16_e32 v66, v36, v20
	v_mul_lo_u16_sdwa v20, v39, s0 dst_sel:DWORD dst_unused:UNUSED_PAD src0_sel:BYTE_0 src1_sel:DWORD
	v_lshrrev_b16_e32 v67, 12, v20
	v_mul_lo_u16_e32 v20, 17, v67
	v_mov_b32_e32 v30, 3
	v_sub_u16_e32 v68, v39, v20
	v_lshlrev_b32_sdwa v31, v30, v64 dst_sel:DWORD dst_unused:UNUSED_PAD src0_sel:DWORD src1_sel:BYTE_0
	v_lshlrev_b32_sdwa v32, v30, v66 dst_sel:DWORD dst_unused:UNUSED_PAD src0_sel:DWORD src1_sel:BYTE_0
	;; [unrolled: 1-line block ×3, first 2 shown]
	global_load_dwordx2 v[28:29], v[22:23], off
	global_load_dwordx2 v[26:27], v31, s[12:13]
	global_load_dwordx2 v[24:25], v32, s[12:13]
	;; [unrolled: 1-line block ×3, first 2 shown]
	v_add_u16_e32 v23, 0xaa, v0
	v_mul_lo_u16_sdwa v31, v23, s0 dst_sel:DWORD dst_unused:UNUSED_PAD src0_sel:BYTE_0 src1_sel:DWORD
	v_add_u16_e32 v40, 0x88, v0
	v_lshrrev_b16_e32 v71, 12, v31
	v_add_u32_e32 v38, 0xcc, v0
	v_mul_lo_u16_sdwa v22, v40, s0 dst_sel:DWORD dst_unused:UNUSED_PAD src0_sel:BYTE_0 src1_sel:DWORD
	v_mul_lo_u16_e32 v31, 17, v71
	v_lshrrev_b16_e32 v69, 12, v22
	v_sub_u16_e32 v72, v23, v31
	v_mul_lo_u16_sdwa v31, v38, s0 dst_sel:DWORD dst_unused:UNUSED_PAD src0_sel:BYTE_0 src1_sel:DWORD
	v_mul_lo_u16_e32 v22, 17, v69
	v_lshrrev_b16_e32 v73, 12, v31
	v_sub_u16_e32 v70, v40, v22
	v_mul_lo_u16_e32 v31, 17, v73
	v_lshlrev_b32_sdwa v22, v30, v70 dst_sel:DWORD dst_unused:UNUSED_PAD src0_sel:DWORD src1_sel:BYTE_0
	v_sub_u16_e32 v74, v38, v31
	v_lshlrev_b32_sdwa v23, v30, v72 dst_sel:DWORD dst_unused:UNUSED_PAD src0_sel:DWORD src1_sel:BYTE_0
	v_lshlrev_b32_sdwa v75, v30, v74 dst_sel:DWORD dst_unused:UNUSED_PAD src0_sel:DWORD src1_sel:BYTE_0
	global_load_dwordx2 v[34:35], v22, s[12:13]
	global_load_dwordx2 v[32:33], v23, s[12:13]
	;; [unrolled: 1-line block ×3, first 2 shown]
	v_add_u32_e32 v22, 0xee, v0
	s_mov_b32 s0, 0xf0f1
	v_mul_u32_u24_sdwa v23, v22, s0 dst_sel:DWORD dst_unused:UNUSED_PAD src0_sel:WORD_0 src1_sel:DWORD
	v_lshrrev_b32_e32 v23, 20, v23
	v_mul_lo_u16_e32 v23, 17, v23
	v_sub_u16_e32 v75, v22, v23
	v_lshlrev_b32_e32 v22, 3, v75
	global_load_dwordx2 v[22:23], v22, s[12:13]
	v_cmp_lt_u32_e64 s[0:1], 16, v0
	s_movk_i32 s6, 0x88
	s_load_dwordx2 s[4:5], s[4:5], 0x0
	s_waitcnt vmcnt(0) lgkmcnt(0)
	s_barrier
	v_mul_f32_e32 v76, v18, v29
	v_mul_f32_e32 v77, v19, v27
	v_fma_f32 v77, v47, v26, -v77
	v_mul_f32_e32 v78, v16, v25
	v_sub_f32_e32 v77, v50, v77
	v_fma_f32 v78, v44, v24, -v78
	v_fma_f32 v83, v50, 2.0, -v77
	v_mov_b32_e32 v50, 0x88
	v_mul_f32_e32 v79, v17, v21
	v_sub_f32_e32 v78, v51, v78
	v_cndmask_b32_e64 v50, 0, v50, s[0:1]
	v_fma_f32 v79, v45, v20, -v79
	v_fma_f32 v84, v51, 2.0, -v78
	v_add_u32_e32 v50, 0, v50
	v_lshlrev_b32_e32 v51, 2, v62
	v_mov_b32_e32 v62, 2
	v_fma_f32 v76, v46, v28, -v76
	v_sub_f32_e32 v79, v54, v79
	v_add3_u32 v50, v50, v51, v57
	v_mad_u32_u24 v51, v63, s6, 0
	v_mul_f32_e32 v80, v14, v35
	v_mul_f32_e32 v81, v15, v33
	v_fma_f32 v81, v43, v32, -v81
	v_sub_f32_e32 v81, v52, v81
	v_fma_f32 v80, v42, v34, -v80
	v_fma_f32 v87, v52, 2.0, -v81
	v_lshlrev_b32_sdwa v52, v62, v64 dst_sel:DWORD dst_unused:UNUSED_PAD src0_sel:DWORD src1_sel:BYTE_0
	v_sub_f32_e32 v76, v60, v76
	v_sub_f32_e32 v80, v55, v80
	v_fma_f32 v85, v54, 2.0, -v79
	v_add3_u32 v51, v51, v52, v57
	v_mad_u32_u24 v52, v65, s6, 0
	v_lshlrev_b32_sdwa v54, v62, v66 dst_sel:DWORD dst_unused:UNUSED_PAD src0_sel:DWORD src1_sel:BYTE_0
	v_fma_f32 v60, v60, 2.0, -v76
	v_fma_f32 v86, v55, 2.0, -v80
	v_add3_u32 v52, v52, v54, v57
	v_mad_u32_u24 v54, v67, s6, 0
	v_lshlrev_b32_sdwa v55, v62, v68 dst_sel:DWORD dst_unused:UNUSED_PAD src0_sel:DWORD src1_sel:BYTE_0
	v_mul_f32_e32 v82, v61, v31
	ds_write2_b32 v50, v60, v76 offset1:17
	v_add3_u32 v54, v54, v55, v57
	v_mad_u32_u24 v55, v69, s6, 0
	v_lshlrev_b32_sdwa v60, v62, v70 dst_sel:DWORD dst_unused:UNUSED_PAD src0_sel:DWORD src1_sel:BYTE_0
	v_fma_f32 v82, v59, v30, -v82
	v_add3_u32 v55, v55, v60, v57
	v_mad_u32_u24 v60, v71, s6, 0
	v_lshlrev_b32_sdwa v63, v62, v72 dst_sel:DWORD dst_unused:UNUSED_PAD src0_sel:DWORD src1_sel:BYTE_0
	v_sub_f32_e32 v82, v53, v82
	v_add3_u32 v60, v60, v63, v57
	v_mad_u32_u24 v63, v73, s6, 0
	v_lshlrev_b32_sdwa v62, v62, v74 dst_sel:DWORD dst_unused:UNUSED_PAD src0_sel:DWORD src1_sel:BYTE_0
	v_fma_f32 v53, v53, 2.0, -v82
	v_add3_u32 v62, v63, v62, v57
	ds_write2_b32 v51, v83, v77 offset1:17
	ds_write2_b32 v52, v84, v78 offset1:17
	;; [unrolled: 1-line block ×6, first 2 shown]
	v_lshlrev_b32_e32 v53, 2, v75
	s_and_saveexec_b64 s[0:1], s[2:3]
	s_cbranch_execz .LBB0_20
; %bb.19:
	v_mul_f32_e32 v64, v49, v23
	v_fma_f32 v64, v7, v22, -v64
	v_add3_u32 v63, 0, v53, v57
	v_sub_f32_e32 v64, v6, v64
	v_fma_f32 v6, v6, 2.0, -v64
	v_add_u32_e32 v63, 0x400, v63
	ds_write2_b32 v63, v6, v64 offset0:220 offset1:237
.LBB0_20:
	s_or_b64 exec, exec, s[0:1]
	v_mul_f32_e32 v6, v46, v29
	v_fmac_f32_e32 v6, v18, v28
	v_mul_f32_e32 v18, v47, v27
	v_fmac_f32_e32 v18, v19, v26
	;; [unrolled: 2-line block ×6, first 2 shown]
	v_mul_f32_e32 v15, v59, v31
	v_sub_f32_e32 v28, v41, v6
	v_fmac_f32_e32 v15, v61, v30
	v_fma_f32 v29, v41, 2.0, -v28
	v_sub_f32_e32 v30, v12, v18
	v_sub_f32_e32 v32, v13, v19
	;; [unrolled: 1-line block ×4, first 2 shown]
	v_add_u32_e32 v6, 0x400, v58
	v_add_u32_e32 v26, 0x200, v58
	v_fma_f32 v31, v12, 2.0, -v30
	v_fma_f32 v33, v13, 2.0, -v32
	;; [unrolled: 1-line block ×4, first 2 shown]
	v_sub_f32_e32 v43, v8, v14
	v_sub_f32_e32 v44, v9, v15
	s_waitcnt lgkmcnt(0)
	s_barrier
	ds_read_b32 v27, v56
	ds_read2_b32 v[24:25], v58 offset0:170 offset1:204
	ds_read2_b32 v[14:15], v6 offset0:50 offset1:84
	;; [unrolled: 1-line block ×7, first 2 shown]
	v_fma_f32 v8, v8, 2.0, -v43
	v_fma_f32 v9, v9, 2.0, -v44
	s_waitcnt lgkmcnt(0)
	s_barrier
	ds_write2_b32 v50, v29, v28 offset1:17
	ds_write2_b32 v51, v31, v30 offset1:17
	ds_write2_b32 v52, v33, v32 offset1:17
	ds_write2_b32 v54, v35, v34 offset1:17
	ds_write2_b32 v55, v42, v41 offset1:17
	ds_write2_b32 v60, v8, v43 offset1:17
	ds_write2_b32 v62, v9, v44 offset1:17
	s_and_saveexec_b64 s[0:1], s[2:3]
	s_cbranch_execz .LBB0_22
; %bb.21:
	v_mul_f32_e32 v7, v7, v23
	v_fmac_f32_e32 v7, v49, v22
	v_sub_f32_e32 v7, v48, v7
	v_add3_u32 v9, 0, v53, v57
	v_fma_f32 v8, v48, 2.0, -v7
	v_add_u32_e32 v9, 0x400, v9
	ds_write2_b32 v9, v8, v7 offset0:220 offset1:237
.LBB0_22:
	s_or_b64 exec, exec, s[0:1]
	v_lshlrev_b32_e32 v8, 1, v0
	v_mov_b32_e32 v9, 0
	v_lshlrev_b64 v[7:8], 3, v[8:9]
	v_mov_b32_e32 v22, s13
	v_add_co_u32_e64 v7, s[0:1], s12, v7
	v_addc_co_u32_e64 v8, s[0:1], v22, v8, s[0:1]
	s_movk_i32 s0, 0xf1
	s_waitcnt lgkmcnt(0)
	s_barrier
	global_load_dwordx4 v[28:31], v[7:8], off offset:136
	v_mul_lo_u16_sdwa v7, v36, s0 dst_sel:DWORD dst_unused:UNUSED_PAD src0_sel:BYTE_0 src1_sel:DWORD
	v_lshrrev_b16_e32 v7, 13, v7
	v_mul_lo_u16_e32 v7, 34, v7
	v_sub_u16_e32 v55, v36, v7
	v_mov_b32_e32 v7, 4
	v_lshlrev_b32_sdwa v8, v7, v55 dst_sel:DWORD dst_unused:UNUSED_PAD src0_sel:DWORD src1_sel:BYTE_0
	global_load_dwordx4 v[32:35], v8, s[12:13] offset:136
	v_mul_lo_u16_sdwa v8, v39, s0 dst_sel:DWORD dst_unused:UNUSED_PAD src0_sel:BYTE_0 src1_sel:DWORD
	v_lshrrev_b16_e32 v8, 13, v8
	v_mul_lo_u16_e32 v8, 34, v8
	v_sub_u16_e32 v63, v39, v8
	v_lshlrev_b32_sdwa v8, v7, v63 dst_sel:DWORD dst_unused:UNUSED_PAD src0_sel:DWORD src1_sel:BYTE_0
	global_load_dwordx4 v[41:44], v8, s[12:13] offset:136
	v_mul_lo_u16_sdwa v22, v40, s0 dst_sel:DWORD dst_unused:UNUSED_PAD src0_sel:BYTE_0 src1_sel:DWORD
	v_lshrrev_b16_e32 v22, 13, v22
	v_mul_lo_u16_e32 v8, 34, v22
	v_sub_u16_e32 v40, v40, v8
	v_lshlrev_b32_sdwa v7, v7, v40 dst_sel:DWORD dst_unused:UNUSED_PAD src0_sel:DWORD src1_sel:BYTE_0
	global_load_dwordx4 v[45:48], v7, s[12:13] offset:136
	ds_read_b32 v64, v56
	ds_read2_b32 v[7:8], v58 offset0:170 offset1:204
	ds_read2_b32 v[22:23], v6 offset0:50 offset1:84
	;; [unrolled: 1-line block ×7, first 2 shown]
	s_waitcnt vmcnt(0) lgkmcnt(0)
	s_barrier
	v_mul_f32_e32 v65, v7, v29
	v_mul_f32_e32 v66, v24, v29
	;; [unrolled: 1-line block ×8, first 2 shown]
	v_fmac_f32_e32 v66, v7, v28
	v_fma_f32 v7, v15, v30, -v67
	v_fmac_f32_e32 v68, v23, v30
	v_fma_f32 v15, v25, v28, -v69
	;; [unrolled: 2-line block ×3, first 2 shown]
	v_mul_f32_e32 v20, v53, v33
	v_mul_f32_e32 v25, v52, v35
	v_fma_f32 v24, v24, v28, -v65
	v_mul_f32_e32 v23, v18, v33
	v_fma_f32 v18, v18, v32, -v20
	v_fma_f32 v20, v21, v34, -v25
	v_add_f32_e32 v25, v66, v68
	v_add_f32_e32 v65, v27, v24
	;; [unrolled: 1-line block ×3, first 2 shown]
	v_fmac_f32_e32 v64, -0.5, v25
	v_mul_f32_e32 v28, v21, v35
	v_add_f32_e32 v67, v24, v7
	v_fmac_f32_e32 v23, v53, v32
	v_add_f32_e32 v21, v65, v7
	v_sub_f32_e32 v7, v24, v7
	v_mov_b32_e32 v32, v64
	v_add_f32_e32 v24, v15, v8
	v_fmac_f32_e32 v31, v51, v30
	v_fmac_f32_e32 v32, 0xbf5db3d7, v7
	;; [unrolled: 1-line block ×3, first 2 shown]
	v_add_f32_e32 v7, v12, v15
	v_fma_f32 v12, -0.5, v24, v12
	v_sub_f32_e32 v24, v29, v31
	v_mov_b32_e32 v25, v12
	v_fmac_f32_e32 v25, 0x3f5db3d7, v24
	v_fmac_f32_e32 v12, 0xbf5db3d7, v24
	v_add_f32_e32 v24, v49, v29
	v_fmac_f32_e32 v28, v52, v34
	v_add_f32_e32 v34, v24, v31
	v_add_f32_e32 v24, v29, v31
	v_mul_f32_e32 v35, v61, v44
	v_fma_f32 v31, -0.5, v24, v49
	v_mul_f32_e32 v30, v54, v42
	v_mul_f32_e32 v33, v19, v42
	;; [unrolled: 1-line block ×3, first 2 shown]
	v_fma_f32 v16, v16, v43, -v35
	v_add_f32_e32 v7, v7, v8
	v_sub_f32_e32 v8, v15, v8
	v_mov_b32_e32 v35, v31
	v_add_f32_e32 v15, v18, v20
	v_fmac_f32_e32 v35, 0xbf5db3d7, v8
	v_fmac_f32_e32 v31, 0x3f5db3d7, v8
	v_add_f32_e32 v8, v13, v18
	v_fmac_f32_e32 v13, -0.5, v15
	v_sub_f32_e32 v15, v23, v28
	v_mov_b32_e32 v24, v13
	v_fmac_f32_e32 v24, 0x3f5db3d7, v15
	v_fmac_f32_e32 v13, 0xbf5db3d7, v15
	v_add_f32_e32 v15, v50, v23
	v_fma_f32 v19, v19, v41, -v30
	v_fmac_f32_e32 v33, v54, v41
	v_add_f32_e32 v41, v15, v28
	v_add_f32_e32 v15, v23, v28
	v_fmac_f32_e32 v50, -0.5, v15
	v_fmac_f32_e32 v42, v61, v43
	v_sub_f32_e32 v15, v18, v20
	v_mov_b32_e32 v43, v50
	v_add_f32_e32 v18, v19, v16
	v_mul_f32_e32 v44, v22, v46
	v_mul_f32_e32 v46, v14, v46
	v_fmac_f32_e32 v27, -0.5, v67
	v_fmac_f32_e32 v43, 0xbf5db3d7, v15
	v_fmac_f32_e32 v50, 0x3f5db3d7, v15
	v_add_f32_e32 v15, v10, v19
	v_fma_f32 v10, -0.5, v18, v10
	v_sub_f32_e32 v69, v66, v68
	v_fmac_f32_e32 v46, v22, v45
	v_mov_b32_e32 v22, v27
	v_add_f32_e32 v8, v8, v20
	v_sub_f32_e32 v18, v33, v42
	v_mov_b32_e32 v20, v10
	v_fmac_f32_e32 v22, 0x3f5db3d7, v69
	v_fmac_f32_e32 v20, 0x3f5db3d7, v18
	;; [unrolled: 1-line block ×3, first 2 shown]
	v_add_f32_e32 v18, v59, v33
	v_mul_f32_e32 v51, v62, v48
	v_fma_f32 v14, v14, v45, -v44
	v_fmac_f32_e32 v27, 0xbf5db3d7, v69
	v_add_f32_e32 v44, v18, v42
	v_add_f32_e32 v18, v33, v42
	ds_write2_b32 v58, v21, v22 offset1:34
	ds_write2_b32 v58, v27, v7 offset0:68 offset1:102
	ds_write2_b32 v58, v25, v12 offset0:136 offset1:170
	v_mov_b32_e32 v7, 2
	v_mul_f32_e32 v48, v17, v48
	v_fma_f32 v17, v17, v47, -v51
	v_fma_f32 v33, -0.5, v18, v59
	v_lshlrev_b32_sdwa v12, v7, v55 dst_sel:DWORD dst_unused:UNUSED_PAD src0_sel:DWORD src1_sel:BYTE_0
	v_add_f32_e32 v15, v15, v16
	v_sub_f32_e32 v16, v19, v16
	v_mov_b32_e32 v42, v33
	v_add_f32_e32 v18, v14, v17
	v_add3_u32 v12, 0, v12, v57
	v_fmac_f32_e32 v48, v62, v47
	v_fmac_f32_e32 v42, 0xbf5db3d7, v16
	;; [unrolled: 1-line block ×3, first 2 shown]
	v_add_f32_e32 v16, v11, v14
	v_fmac_f32_e32 v11, -0.5, v18
	ds_write2_b32 v12, v8, v24 offset0:204 offset1:238
	ds_write_b32 v12, v13 offset:1088
	v_lshlrev_b32_sdwa v8, v7, v63 dst_sel:DWORD dst_unused:UNUSED_PAD src0_sel:DWORD src1_sel:BYTE_0
	v_sub_f32_e32 v18, v46, v48
	v_mov_b32_e32 v19, v11
	v_add3_u32 v8, 0, v8, v57
	v_lshlrev_b32_sdwa v7, v7, v40 dst_sel:DWORD dst_unused:UNUSED_PAD src0_sel:DWORD src1_sel:BYTE_0
	v_fmac_f32_e32 v19, 0x3f5db3d7, v18
	v_fmac_f32_e32 v11, 0xbf5db3d7, v18
	v_add_f32_e32 v18, v60, v46
	v_add_u32_e32 v13, 0x400, v8
	v_add3_u32 v7, 0, v7, v57
	v_add_f32_e32 v16, v16, v17
	v_add_f32_e32 v45, v18, v48
	;; [unrolled: 1-line block ×3, first 2 shown]
	ds_write2_b32 v13, v15, v20 offset0:50 offset1:84
	ds_write_b32 v8, v10 offset:1496
	v_add_u32_e32 v10, 0x400, v7
	v_fmac_f32_e32 v60, -0.5, v18
	v_sub_f32_e32 v14, v14, v17
	ds_write2_b32 v10, v16, v19 offset0:152 offset1:186
	ds_write_b32 v7, v11 offset:1904
	s_waitcnt lgkmcnt(0)
	s_barrier
	ds_read_b32 v29, v56
	ds_read2_b32 v[17:18], v58 offset0:102 offset1:136
	ds_read2_b32 v[21:22], v58 offset0:170 offset1:204
	;; [unrolled: 1-line block ×7, first 2 shown]
	v_add_f32_e32 v30, v70, v68
	v_mov_b32_e32 v46, v60
	v_fmac_f32_e32 v46, 0xbf5db3d7, v14
	v_fmac_f32_e32 v60, 0x3f5db3d7, v14
	s_waitcnt lgkmcnt(0)
	s_barrier
	ds_write2_b32 v58, v30, v32 offset1:34
	ds_write2_b32 v58, v64, v34 offset0:68 offset1:102
	ds_write2_b32 v58, v35, v31 offset0:136 offset1:170
	;; [unrolled: 1-line block ×3, first 2 shown]
	ds_write_b32 v12, v50 offset:1088
	ds_write2_b32 v13, v44, v42 offset0:50 offset1:84
	ds_write_b32 v8, v33 offset:1496
	ds_write2_b32 v10, v45, v46 offset0:152 offset1:186
	ds_write_b32 v7, v60 offset:1904
	s_waitcnt lgkmcnt(0)
	s_barrier
	s_and_saveexec_b64 s[0:1], vcc
	s_cbranch_execz .LBB0_24
; %bb.23:
	v_lshlrev_b32_e32 v8, 2, v36
	v_lshlrev_b64 v[6:7], 3, v[8:9]
	v_mov_b32_e32 v48, s13
	v_add_co_u32_e32 v6, vcc, s12, v6
	v_addc_co_u32_e32 v7, vcc, v48, v7, vcc
	global_load_dwordx4 v[10:13], v[6:7], off offset:680
	global_load_dwordx4 v[30:33], v[6:7], off offset:696
	v_mul_lo_u32 v6, s5, v3
	v_mad_u64_u32 v[34:35], s[0:1], s4, v3, 0
	v_add_u32_e32 v3, 0x200, v58
	v_lshlrev_b32_e32 v8, 2, v37
	v_mul_lo_u32 v7, s4, v4
	ds_read2_b32 v[51:52], v58 offset0:170 offset1:204
	v_add_u32_e32 v55, 0x400, v58
	ds_read2_b32 v[53:54], v58 offset0:34 offset1:68
	ds_read2_b32 v[59:60], v3 offset0:110 offset1:144
	;; [unrolled: 1-line block ×4, first 2 shown]
	v_lshlrev_b64 v[3:4], 3, v[8:9]
	v_add3_u32 v35, v35, v7, v6
	v_add_co_u32_e32 v3, vcc, s12, v3
	v_addc_co_u32_e32 v4, vcc, v48, v4, vcc
	global_load_dwordx4 v[40:43], v[3:4], off offset:696
	global_load_dwordx4 v[44:47], v[3:4], off offset:680
	v_lshlrev_b64 v[1:2], 3, v[1:2]
	s_mov_b32 s2, 0xa0a0a0a1
	s_movk_i32 s3, 0x198
	s_waitcnt vmcnt(3)
	v_mul_f32_e32 v3, v21, v11
	v_mul_f32_e32 v4, v26, v13
	s_waitcnt vmcnt(2)
	v_mul_f32_e32 v6, v28, v33
	s_waitcnt lgkmcnt(2)
	v_mul_f32_e32 v7, v60, v13
	s_waitcnt lgkmcnt(0)
	v_mul_f32_e32 v8, v63, v31
	v_mul_f32_e32 v11, v51, v11
	;; [unrolled: 1-line block ×4, first 2 shown]
	v_fmac_f32_e32 v3, v51, v10
	v_fmac_f32_e32 v4, v60, v12
	v_fmac_f32_e32 v6, v62, v32
	v_fma_f32 v26, v26, v12, -v7
	v_fma_f32 v15, v15, v30, -v8
	;; [unrolled: 1-line block ×4, first 2 shown]
	v_fmac_f32_e32 v14, v63, v30
	v_sub_f32_e32 v8, v3, v4
	v_sub_f32_e32 v12, v7, v26
	;; [unrolled: 1-line block ×3, first 2 shown]
	v_add_f32_e32 v32, v26, v15
	v_sub_f32_e32 v33, v3, v6
	v_sub_f32_e32 v50, v4, v3
	v_add_f32_e32 v57, v3, v6
	v_add_f32_e32 v63, v7, v21
	;; [unrolled: 1-line block ×3, first 2 shown]
	v_sub_f32_e32 v30, v7, v21
	v_sub_f32_e32 v60, v26, v7
	v_add_f32_e32 v65, v24, v7
	v_add_f32_e32 v67, v12, v31
	v_fma_f32 v12, -0.5, v32, v24
	v_fma_f32 v7, -0.5, v63, v24
	v_add_f32_e32 v24, v4, v3
	v_sub_f32_e32 v10, v6, v14
	v_sub_f32_e32 v28, v26, v15
	v_add_f32_e32 v11, v4, v14
	v_sub_f32_e32 v49, v4, v14
	v_sub_f32_e32 v51, v14, v6
	v_add_f32_e32 v26, v65, v26
	v_add_f32_e32 v14, v14, v24
	v_sub_f32_e32 v62, v15, v21
	v_add_f32_e32 v24, v26, v15
	v_add_f32_e32 v15, v6, v14
	v_mov_b32_e32 v6, v9
	v_add_f32_e32 v66, v8, v10
	v_fma_f32 v8, -0.5, v57, v54
	v_lshlrev_b64 v[5:6], 3, v[5:6]
	v_fma_f32 v13, -0.5, v11, v54
	v_mov_b32_e32 v11, v8
	v_mov_b32_e32 v10, v7
	;; [unrolled: 1-line block ×3, first 2 shown]
	v_fmac_f32_e32 v11, 0x3f737871, v28
	v_fmac_f32_e32 v10, 0xbf737871, v49
	;; [unrolled: 1-line block ×4, first 2 shown]
	v_add_co_u32_e32 v5, vcc, s12, v5
	v_add_f32_e32 v31, v50, v51
	v_add_f32_e32 v32, v60, v62
	v_mov_b32_e32 v4, v13
	v_fmac_f32_e32 v3, 0xbf737871, v33
	v_fmac_f32_e32 v11, 0xbf167918, v30
	;; [unrolled: 1-line block ×6, first 2 shown]
	v_addc_co_u32_e32 v6, vcc, v48, v6, vcc
	v_fmac_f32_e32 v4, 0x3f737871, v30
	v_fmac_f32_e32 v3, 0xbf167918, v49
	;; [unrolled: 1-line block ×8, first 2 shown]
	global_load_dwordx4 v[30:33], v[5:6], off offset:696
	global_load_dwordx4 v[48:51], v[5:6], off offset:680
	ds_read2_b32 v[5:6], v58 offset0:102 offset1:136
	ds_read2_b32 v[54:55], v55 offset0:50 offset1:84
	v_fmac_f32_e32 v4, 0x3f167918, v28
	v_fmac_f32_e32 v13, 0xbf167918, v28
	s_waitcnt vmcnt(2)
	v_mul_f32_e32 v9, v25, v47
	v_mul_f32_e32 v28, v18, v45
	;; [unrolled: 1-line block ×4, first 2 shown]
	v_fmac_f32_e32 v9, v59, v46
	s_waitcnt lgkmcnt(1)
	v_fmac_f32_e32 v28, v6, v44
	s_waitcnt lgkmcnt(0)
	v_fmac_f32_e32 v57, v55, v40
	v_fmac_f32_e32 v58, v61, v42
	v_add_f32_e32 v14, v21, v24
	v_sub_f32_e32 v21, v9, v28
	v_sub_f32_e32 v24, v57, v58
	v_mul_f32_e32 v6, v6, v45
	v_add_f32_e32 v26, v21, v24
	v_fma_f32 v6, v18, v44, -v6
	v_mul_f32_e32 v18, v61, v43
	v_mul_f32_e32 v24, v59, v47
	v_fma_f32 v18, v27, v42, -v18
	v_fma_f32 v42, v25, v46, -v24
	v_mul_f32_e32 v24, v55, v41
	v_fma_f32 v45, v20, v40, -v24
	v_sub_f32_e32 v20, v42, v6
	v_sub_f32_e32 v24, v45, v18
	v_add_f32_e32 v21, v28, v58
	v_add_f32_e32 v27, v20, v24
	;; [unrolled: 1-line block ×3, first 2 shown]
	v_fma_f32 v21, -0.5, v21, v53
	v_fma_f32 v20, -0.5, v20, v23
	v_sub_f32_e32 v46, v42, v45
	v_mov_b32_e32 v25, v21
	v_sub_f32_e32 v47, v9, v57
	v_mov_b32_e32 v24, v20
	v_sub_f32_e32 v44, v6, v18
	v_fmac_f32_e32 v25, 0xbf737871, v46
	v_fmac_f32_e32 v24, 0x3f737871, v47
	v_sub_f32_e32 v55, v28, v58
	v_fmac_f32_e32 v21, 0x3f737871, v46
	v_fmac_f32_e32 v20, 0xbf737871, v47
	;; [unrolled: 1-line block ×10, first 2 shown]
	v_sub_f32_e32 v26, v28, v9
	v_sub_f32_e32 v27, v58, v57
	v_add_f32_e32 v59, v26, v27
	v_add_f32_e32 v26, v9, v57
	;; [unrolled: 1-line block ×3, first 2 shown]
	v_fma_f32 v27, -0.5, v26, v53
	v_sub_f32_e32 v26, v6, v42
	v_add_f32_e32 v9, v9, v28
	v_add_f32_e32 v6, v23, v6
	v_mov_b32_e32 v41, v27
	v_sub_f32_e32 v40, v18, v45
	v_add_f32_e32 v9, v57, v9
	v_add_f32_e32 v6, v42, v6
	v_fmac_f32_e32 v41, 0xbf737871, v44
	v_add_f32_e32 v60, v26, v40
	v_add_f32_e32 v26, v42, v45
	;; [unrolled: 1-line block ×4, first 2 shown]
	v_fmac_f32_e32 v27, 0x3f737871, v44
	v_fma_f32 v26, -0.5, v26, v23
	v_mov_b32_e32 v40, v26
	v_add_f32_e32 v42, v6, v18
	v_fmac_f32_e32 v41, 0xbf167918, v46
	v_fmac_f32_e32 v40, 0x3f737871, v55
	v_fmac_f32_e32 v27, 0x3f167918, v46
	v_fmac_f32_e32 v26, 0xbf737871, v55
	v_fmac_f32_e32 v40, 0x3f167918, v47
	v_fmac_f32_e32 v26, 0xbf167918, v47
	v_fmac_f32_e32 v3, 0x3e9e377a, v67
	s_waitcnt vmcnt(1)
	v_mul_f32_e32 v44, v16, v33
	s_waitcnt vmcnt(0)
	v_mul_f32_e32 v9, v17, v49
	v_mul_f32_e32 v28, v22, v51
	;; [unrolled: 1-line block ×3, first 2 shown]
	v_fmac_f32_e32 v9, v5, v48
	v_fmac_f32_e32 v28, v52, v50
	;; [unrolled: 1-line block ×4, first 2 shown]
	v_sub_f32_e32 v6, v9, v28
	v_sub_f32_e32 v18, v44, v45
	v_add_f32_e32 v46, v6, v18
	v_mul_f32_e32 v6, v52, v51
	v_fma_f32 v47, v22, v50, -v6
	v_mul_f32_e32 v6, v54, v31
	ds_read_b32 v31, v56
	v_mul_f32_e32 v5, v5, v49
	v_fma_f32 v48, v17, v48, -v5
	v_mul_f32_e32 v5, v64, v33
	v_fma_f32 v50, v19, v30, -v6
	v_fma_f32 v32, v16, v32, -v5
	v_add_f32_e32 v5, v28, v45
	v_sub_f32_e32 v18, v28, v9
	v_sub_f32_e32 v19, v45, v44
	s_waitcnt lgkmcnt(0)
	v_fma_f32 v6, -0.5, v5, v31
	v_add_f32_e32 v53, v18, v19
	v_add_f32_e32 v18, v9, v44
	v_sub_f32_e32 v33, v48, v32
	v_mov_b32_e32 v17, v6
	v_fma_f32 v19, -0.5, v18, v31
	v_sub_f32_e32 v30, v47, v50
	v_fmac_f32_e32 v17, 0x3f737871, v33
	v_mov_b32_e32 v23, v19
	v_fmac_f32_e32 v6, 0xbf737871, v33
	v_fmac_f32_e32 v17, 0x3f167918, v30
	v_sub_f32_e32 v51, v9, v44
	v_fmac_f32_e32 v23, 0xbf737871, v30
	v_fmac_f32_e32 v19, 0x3f737871, v30
	;; [unrolled: 1-line block ×3, first 2 shown]
	v_add_f32_e32 v9, v9, v31
	v_mad_u64_u32 v[30:31], s[0:1], s20, v0, 0
	v_add_f32_e32 v9, v28, v9
	v_sub_f32_e32 v5, v48, v47
	v_sub_f32_e32 v16, v32, v50
	;; [unrolled: 1-line block ×4, first 2 shown]
	v_add_f32_e32 v9, v45, v9
	v_add_f32_e32 v49, v5, v16
	;; [unrolled: 1-line block ×3, first 2 shown]
	v_fmac_f32_e32 v23, 0x3f167918, v33
	v_add_f32_e32 v54, v18, v22
	v_add_f32_e32 v18, v48, v32
	v_fmac_f32_e32 v19, 0xbf167918, v33
	v_add_f32_e32 v33, v44, v9
	v_mov_b32_e32 v9, v31
	v_fma_f32 v5, -0.5, v5, v29
	v_sub_f32_e32 v52, v28, v45
	v_fma_f32 v18, -0.5, v18, v29
	v_add_f32_e32 v44, v29, v48
	v_mad_u64_u32 v[28:29], s[0:1], s21, v0, v[9:10]
	v_add_f32_e32 v9, v44, v47
	v_add_f32_e32 v9, v9, v50
	v_mov_b32_e32 v31, v28
	v_lshlrev_b64 v[28:29], 3, v[34:35]
	v_add_f32_e32 v32, v32, v9
	v_mov_b32_e32 v9, s11
	v_add_co_u32_e32 v34, vcc, s10, v28
	v_addc_co_u32_e32 v9, vcc, v9, v29, vcc
	v_mad_u64_u32 v[28:29], s[0:1], s20, v39, 0
	v_add_co_u32_e32 v34, vcc, v34, v1
	v_addc_co_u32_e32 v35, vcc, v9, v2, vcc
	v_mov_b32_e32 v9, v29
	v_lshlrev_b64 v[1:2], 3, v[30:31]
	v_mad_u64_u32 v[29:30], s[0:1], s21, v39, v[9:10]
	v_add_co_u32_e32 v1, vcc, v34, v1
	v_addc_co_u32_e32 v2, vcc, v35, v2, vcc
	global_store_dwordx2 v[1:2], v[32:33], off
	v_lshlrev_b64 v[1:2], 3, v[28:29]
	v_mad_u64_u32 v[28:29], s[0:1], s20, v38, 0
	v_mov_b32_e32 v16, v5
	v_fmac_f32_e32 v5, 0x3f737871, v51
	v_mov_b32_e32 v9, v29
	v_mad_u64_u32 v[29:30], s[0:1], s21, v38, v[9:10]
	v_add_u32_e32 v9, 0x132, v0
	v_mad_u64_u32 v[30:31], s[0:1], s20, v9, 0
	v_fmac_f32_e32 v5, 0x3f167918, v52
	v_add_co_u32_e32 v1, vcc, v34, v1
	v_fmac_f32_e32 v6, 0x3e9e377a, v46
	v_fmac_f32_e32 v5, 0x3e9e377a, v49
	v_addc_co_u32_e32 v2, vcc, v35, v2, vcc
	global_store_dwordx2 v[1:2], v[5:6], off
	v_mov_b32_e32 v5, v31
	v_mad_u64_u32 v[5:6], s[0:1], s21, v9, v[5:6]
	v_lshlrev_b64 v[1:2], 3, v[28:29]
	v_mov_b32_e32 v22, v18
	v_fmac_f32_e32 v18, 0xbf737871, v52
	v_fmac_f32_e32 v18, 0x3f167918, v51
	v_add_co_u32_e32 v1, vcc, v34, v1
	v_fmac_f32_e32 v19, 0x3e9e377a, v53
	v_fmac_f32_e32 v18, 0x3e9e377a, v54
	v_addc_co_u32_e32 v2, vcc, v35, v2, vcc
	v_mov_b32_e32 v31, v5
	v_add_u32_e32 v9, 0x198, v0
	global_store_dwordx2 v[1:2], v[18:19], off
	v_lshlrev_b64 v[1:2], 3, v[30:31]
	v_mad_u64_u32 v[5:6], s[0:1], s20, v9, 0
	v_fmac_f32_e32 v22, 0x3f737871, v52
	v_fmac_f32_e32 v22, 0xbf167918, v51
	v_add_co_u32_e32 v0, vcc, v34, v1
	v_fmac_f32_e32 v23, 0x3e9e377a, v53
	v_fmac_f32_e32 v22, 0x3e9e377a, v54
	v_addc_co_u32_e32 v1, vcc, v35, v2, vcc
	global_store_dwordx2 v[0:1], v[22:23], off
	v_mov_b32_e32 v0, v6
	v_mul_hi_u32 v2, v37, s2
	v_mad_u64_u32 v[0:1], s[0:1], s21, v9, v[0:1]
	v_fmac_f32_e32 v16, 0xbf737871, v51
	v_lshrrev_b32_e32 v2, 6, v2
	v_mov_b32_e32 v6, v0
	v_mad_u32_u24 v9, v2, s3, v37
	v_lshlrev_b64 v[0:1], 3, v[5:6]
	v_mad_u64_u32 v[5:6], s[0:1], s20, v9, 0
	v_fmac_f32_e32 v16, 0xbf167918, v52
	v_add_co_u32_e32 v0, vcc, v34, v0
	v_mov_b32_e32 v2, v6
	v_mad_u64_u32 v[18:19], s[0:1], s21, v9, v[2:3]
	v_add_u32_e32 v19, 0x66, v9
	v_mad_u64_u32 v[22:23], s[0:1], s20, v19, 0
	v_fmac_f32_e32 v17, 0x3e9e377a, v46
	v_fmac_f32_e32 v16, 0x3e9e377a, v49
	v_addc_co_u32_e32 v1, vcc, v35, v1, vcc
	v_mov_b32_e32 v6, v18
	v_mov_b32_e32 v2, v23
	global_store_dwordx2 v[0:1], v[16:17], off
	v_lshlrev_b64 v[0:1], 3, v[5:6]
	v_mad_u64_u32 v[5:6], s[0:1], s21, v19, v[2:3]
	v_add_u32_e32 v16, 0xcc, v9
	v_add_co_u32_e32 v0, vcc, v34, v0
	v_mov_b32_e32 v23, v5
	v_mad_u64_u32 v[5:6], s[0:1], s20, v16, 0
	v_add_u32_e32 v19, 0x132, v9
	v_addc_co_u32_e32 v1, vcc, v35, v1, vcc
	v_mov_b32_e32 v2, v6
	v_mad_u64_u32 v[16:17], s[0:1], s21, v16, v[2:3]
	v_mad_u64_u32 v[17:18], s[0:1], s20, v19, 0
	global_store_dwordx2 v[0:1], v[42:43], off
	v_lshlrev_b64 v[0:1], 3, v[22:23]
	v_fmac_f32_e32 v41, 0x3e9e377a, v59
	v_add_co_u32_e32 v0, vcc, v34, v0
	v_fmac_f32_e32 v40, 0x3e9e377a, v60
	v_addc_co_u32_e32 v1, vcc, v35, v1, vcc
	v_mov_b32_e32 v6, v16
	v_mov_b32_e32 v2, v18
	global_store_dwordx2 v[0:1], v[40:41], off
	v_lshlrev_b64 v[0:1], 3, v[5:6]
	v_mad_u64_u32 v[5:6], s[0:1], s21, v19, v[2:3]
	v_add_co_u32_e32 v0, vcc, v34, v0
	v_add_u32_e32 v9, 0x198, v9
	v_addc_co_u32_e32 v1, vcc, v35, v1, vcc
	v_mov_b32_e32 v18, v5
	v_mad_u64_u32 v[5:6], s[0:1], s20, v9, 0
	global_store_dwordx2 v[0:1], v[20:21], off
	v_lshlrev_b64 v[0:1], 3, v[17:18]
	v_mul_hi_u32 v18, v36, s2
	v_mov_b32_e32 v2, v6
	v_mad_u64_u32 v[16:17], s[0:1], s21, v9, v[2:3]
	v_lshrrev_b32_e32 v2, 6, v18
	v_mad_u32_u24 v9, v2, s3, v36
	v_mad_u64_u32 v[17:18], s[0:1], s20, v9, 0
	v_add_co_u32_e32 v0, vcc, v34, v0
	v_addc_co_u32_e32 v1, vcc, v35, v1, vcc
	v_mov_b32_e32 v6, v16
	v_mov_b32_e32 v2, v18
	global_store_dwordx2 v[0:1], v[24:25], off
	v_lshlrev_b64 v[0:1], 3, v[5:6]
	v_mad_u64_u32 v[5:6], s[0:1], s21, v9, v[2:3]
	v_add_u32_e32 v16, 0x66, v9
	v_add_co_u32_e32 v0, vcc, v34, v0
	v_mov_b32_e32 v18, v5
	v_mad_u64_u32 v[5:6], s[0:1], s20, v16, 0
	v_fmac_f32_e32 v27, 0x3e9e377a, v59
	v_fmac_f32_e32 v26, 0x3e9e377a, v60
	v_addc_co_u32_e32 v1, vcc, v35, v1, vcc
	v_mov_b32_e32 v2, v6
	global_store_dwordx2 v[0:1], v[26:27], off
	v_lshlrev_b64 v[0:1], 3, v[17:18]
	v_mad_u64_u32 v[16:17], s[0:1], s21, v16, v[2:3]
	v_add_u32_e32 v19, 0xcc, v9
	v_mad_u64_u32 v[17:18], s[0:1], s20, v19, 0
	v_add_co_u32_e32 v0, vcc, v34, v0
	v_addc_co_u32_e32 v1, vcc, v35, v1, vcc
	v_mov_b32_e32 v6, v16
	global_store_dwordx2 v[0:1], v[14:15], off
	v_lshlrev_b64 v[0:1], 3, v[5:6]
	v_mov_b32_e32 v2, v18
	v_mad_u64_u32 v[5:6], s[0:1], s21, v19, v[2:3]
	v_add_co_u32_e32 v0, vcc, v34, v0
	v_fmac_f32_e32 v13, 0x3e9e377a, v66
	v_fmac_f32_e32 v12, 0x3e9e377a, v67
	v_addc_co_u32_e32 v1, vcc, v35, v1, vcc
	global_store_dwordx2 v[0:1], v[12:13], off
	v_add_u32_e32 v12, 0x132, v9
	v_mov_b32_e32 v18, v5
	v_mad_u64_u32 v[5:6], s[0:1], s20, v12, 0
	v_add_u32_e32 v9, 0x198, v9
	v_lshlrev_b64 v[0:1], 3, v[17:18]
	v_mov_b32_e32 v2, v6
	v_mad_u64_u32 v[12:13], s[0:1], s21, v12, v[2:3]
	v_mad_u64_u32 v[13:14], s[0:1], s20, v9, 0
	v_add_co_u32_e32 v0, vcc, v34, v0
	v_addc_co_u32_e32 v1, vcc, v35, v1, vcc
	v_mov_b32_e32 v6, v12
	v_mov_b32_e32 v2, v14
	global_store_dwordx2 v[0:1], v[10:11], off
	v_lshlrev_b64 v[0:1], 3, v[5:6]
	v_mad_u64_u32 v[5:6], s[0:1], s21, v9, v[2:3]
	v_add_co_u32_e32 v0, vcc, v34, v0
	v_addc_co_u32_e32 v1, vcc, v35, v1, vcc
	v_mov_b32_e32 v14, v5
	global_store_dwordx2 v[0:1], v[7:8], off
	v_lshlrev_b64 v[0:1], 3, v[13:14]
	v_fmac_f32_e32 v4, 0x3e9e377a, v66
	v_add_co_u32_e32 v0, vcc, v34, v0
	v_addc_co_u32_e32 v1, vcc, v35, v1, vcc
	global_store_dwordx2 v[0:1], v[3:4], off
.LBB0_24:
	s_endpgm
	.section	.rodata,"a",@progbits
	.p2align	6, 0x0
	.amdhsa_kernel fft_rtc_fwd_len510_factors_17_2_3_5_wgs_238_tpt_34_halfLds_sp_op_CI_CI_sbrr_dirReg
		.amdhsa_group_segment_fixed_size 0
		.amdhsa_private_segment_fixed_size 0
		.amdhsa_kernarg_size 104
		.amdhsa_user_sgpr_count 6
		.amdhsa_user_sgpr_private_segment_buffer 1
		.amdhsa_user_sgpr_dispatch_ptr 0
		.amdhsa_user_sgpr_queue_ptr 0
		.amdhsa_user_sgpr_kernarg_segment_ptr 1
		.amdhsa_user_sgpr_dispatch_id 0
		.amdhsa_user_sgpr_flat_scratch_init 0
		.amdhsa_user_sgpr_private_segment_size 0
		.amdhsa_uses_dynamic_stack 0
		.amdhsa_system_sgpr_private_segment_wavefront_offset 0
		.amdhsa_system_sgpr_workgroup_id_x 1
		.amdhsa_system_sgpr_workgroup_id_y 0
		.amdhsa_system_sgpr_workgroup_id_z 0
		.amdhsa_system_sgpr_workgroup_info 0
		.amdhsa_system_vgpr_workitem_id 0
		.amdhsa_next_free_vgpr 93
		.amdhsa_next_free_sgpr 32
		.amdhsa_reserve_vcc 1
		.amdhsa_reserve_flat_scratch 0
		.amdhsa_float_round_mode_32 0
		.amdhsa_float_round_mode_16_64 0
		.amdhsa_float_denorm_mode_32 3
		.amdhsa_float_denorm_mode_16_64 3
		.amdhsa_dx10_clamp 1
		.amdhsa_ieee_mode 1
		.amdhsa_fp16_overflow 0
		.amdhsa_exception_fp_ieee_invalid_op 0
		.amdhsa_exception_fp_denorm_src 0
		.amdhsa_exception_fp_ieee_div_zero 0
		.amdhsa_exception_fp_ieee_overflow 0
		.amdhsa_exception_fp_ieee_underflow 0
		.amdhsa_exception_fp_ieee_inexact 0
		.amdhsa_exception_int_div_zero 0
	.end_amdhsa_kernel
	.text
.Lfunc_end0:
	.size	fft_rtc_fwd_len510_factors_17_2_3_5_wgs_238_tpt_34_halfLds_sp_op_CI_CI_sbrr_dirReg, .Lfunc_end0-fft_rtc_fwd_len510_factors_17_2_3_5_wgs_238_tpt_34_halfLds_sp_op_CI_CI_sbrr_dirReg
                                        ; -- End function
	.section	.AMDGPU.csdata,"",@progbits
; Kernel info:
; codeLenInByte = 12580
; NumSgprs: 36
; NumVgprs: 93
; ScratchSize: 0
; MemoryBound: 0
; FloatMode: 240
; IeeeMode: 1
; LDSByteSize: 0 bytes/workgroup (compile time only)
; SGPRBlocks: 4
; VGPRBlocks: 23
; NumSGPRsForWavesPerEU: 36
; NumVGPRsForWavesPerEU: 93
; Occupancy: 2
; WaveLimiterHint : 1
; COMPUTE_PGM_RSRC2:SCRATCH_EN: 0
; COMPUTE_PGM_RSRC2:USER_SGPR: 6
; COMPUTE_PGM_RSRC2:TRAP_HANDLER: 0
; COMPUTE_PGM_RSRC2:TGID_X_EN: 1
; COMPUTE_PGM_RSRC2:TGID_Y_EN: 0
; COMPUTE_PGM_RSRC2:TGID_Z_EN: 0
; COMPUTE_PGM_RSRC2:TIDIG_COMP_CNT: 0
	.type	__hip_cuid_584d997b1c90cb79,@object ; @__hip_cuid_584d997b1c90cb79
	.section	.bss,"aw",@nobits
	.globl	__hip_cuid_584d997b1c90cb79
__hip_cuid_584d997b1c90cb79:
	.byte	0                               ; 0x0
	.size	__hip_cuid_584d997b1c90cb79, 1

	.ident	"AMD clang version 19.0.0git (https://github.com/RadeonOpenCompute/llvm-project roc-6.4.0 25133 c7fe45cf4b819c5991fe208aaa96edf142730f1d)"
	.section	".note.GNU-stack","",@progbits
	.addrsig
	.addrsig_sym __hip_cuid_584d997b1c90cb79
	.amdgpu_metadata
---
amdhsa.kernels:
  - .args:
      - .actual_access:  read_only
        .address_space:  global
        .offset:         0
        .size:           8
        .value_kind:     global_buffer
      - .offset:         8
        .size:           8
        .value_kind:     by_value
      - .actual_access:  read_only
        .address_space:  global
        .offset:         16
        .size:           8
        .value_kind:     global_buffer
      - .actual_access:  read_only
        .address_space:  global
        .offset:         24
        .size:           8
        .value_kind:     global_buffer
      - .actual_access:  read_only
        .address_space:  global
        .offset:         32
        .size:           8
        .value_kind:     global_buffer
      - .offset:         40
        .size:           8
        .value_kind:     by_value
      - .actual_access:  read_only
        .address_space:  global
        .offset:         48
        .size:           8
        .value_kind:     global_buffer
      - .actual_access:  read_only
        .address_space:  global
        .offset:         56
        .size:           8
        .value_kind:     global_buffer
      - .offset:         64
        .size:           4
        .value_kind:     by_value
      - .actual_access:  read_only
        .address_space:  global
        .offset:         72
        .size:           8
        .value_kind:     global_buffer
      - .actual_access:  read_only
        .address_space:  global
        .offset:         80
        .size:           8
        .value_kind:     global_buffer
      - .actual_access:  read_only
        .address_space:  global
        .offset:         88
        .size:           8
        .value_kind:     global_buffer
      - .actual_access:  write_only
        .address_space:  global
        .offset:         96
        .size:           8
        .value_kind:     global_buffer
    .group_segment_fixed_size: 0
    .kernarg_segment_align: 8
    .kernarg_segment_size: 104
    .language:       OpenCL C
    .language_version:
      - 2
      - 0
    .max_flat_workgroup_size: 238
    .name:           fft_rtc_fwd_len510_factors_17_2_3_5_wgs_238_tpt_34_halfLds_sp_op_CI_CI_sbrr_dirReg
    .private_segment_fixed_size: 0
    .sgpr_count:     36
    .sgpr_spill_count: 0
    .symbol:         fft_rtc_fwd_len510_factors_17_2_3_5_wgs_238_tpt_34_halfLds_sp_op_CI_CI_sbrr_dirReg.kd
    .uniform_work_group_size: 1
    .uses_dynamic_stack: false
    .vgpr_count:     93
    .vgpr_spill_count: 0
    .wavefront_size: 64
amdhsa.target:   amdgcn-amd-amdhsa--gfx906
amdhsa.version:
  - 1
  - 2
...

	.end_amdgpu_metadata
